;; amdgpu-corpus repo=ROCm/rocFFT kind=compiled arch=gfx1201 opt=O3
	.text
	.amdgcn_target "amdgcn-amd-amdhsa--gfx1201"
	.amdhsa_code_object_version 6
	.protected	fft_rtc_fwd_len1360_factors_17_5_16_wgs_255_tpt_85_halfLds_sp_op_CI_CI_unitstride_sbrr_dirReg ; -- Begin function fft_rtc_fwd_len1360_factors_17_5_16_wgs_255_tpt_85_halfLds_sp_op_CI_CI_unitstride_sbrr_dirReg
	.globl	fft_rtc_fwd_len1360_factors_17_5_16_wgs_255_tpt_85_halfLds_sp_op_CI_CI_unitstride_sbrr_dirReg
	.p2align	8
	.type	fft_rtc_fwd_len1360_factors_17_5_16_wgs_255_tpt_85_halfLds_sp_op_CI_CI_unitstride_sbrr_dirReg,@function
fft_rtc_fwd_len1360_factors_17_5_16_wgs_255_tpt_85_halfLds_sp_op_CI_CI_unitstride_sbrr_dirReg: ; @fft_rtc_fwd_len1360_factors_17_5_16_wgs_255_tpt_85_halfLds_sp_op_CI_CI_unitstride_sbrr_dirReg
; %bb.0:
	s_load_b128 s[8:11], s[0:1], 0x0
	v_mul_u32_u24_e32 v1, 0x304, v0
	s_clause 0x1
	s_load_b128 s[4:7], s[0:1], 0x58
	s_load_b128 s[12:15], s[0:1], 0x18
	v_mov_b32_e32 v5, 0
	v_mov_b32_e32 v43, 0
	;; [unrolled: 1-line block ×3, first 2 shown]
	v_lshrrev_b32_e32 v1, 16, v1
	s_delay_alu instid0(VALU_DEP_1) | instskip(NEXT) | instid1(VALU_DEP_4)
	v_mad_co_u64_u32 v[41:42], null, ttmp9, 3, v[1:2]
	v_dual_mov_b32 v42, v5 :: v_dual_mov_b32 v1, v43
	s_delay_alu instid0(VALU_DEP_2) | instskip(NEXT) | instid1(VALU_DEP_2)
	v_dual_mov_b32 v2, v44 :: v_dual_mov_b32 v3, v41
	v_mov_b32_e32 v4, v42
	s_wait_kmcnt 0x0
	v_cmp_lt_u64_e64 s2, s[10:11], 2
	s_delay_alu instid0(VALU_DEP_1)
	s_and_b32 vcc_lo, exec_lo, s2
	s_cbranch_vccnz .LBB0_8
; %bb.1:
	s_load_b64 s[2:3], s[0:1], 0x10
	v_mov_b32_e32 v43, 0
	v_dual_mov_b32 v44, 0 :: v_dual_mov_b32 v7, v41
	s_delay_alu instid0(VALU_DEP_2) | instskip(SKIP_1) | instid1(VALU_DEP_2)
	v_dual_mov_b32 v8, v42 :: v_dual_mov_b32 v1, v43
	s_add_nc_u64 s[16:17], s[14:15], 8
	v_mov_b32_e32 v2, v44
	s_add_nc_u64 s[18:19], s[12:13], 8
	s_mov_b64 s[20:21], 1
	s_wait_kmcnt 0x0
	s_add_nc_u64 s[22:23], s[2:3], 8
	s_mov_b32 s3, 0
.LBB0_2:                                ; =>This Inner Loop Header: Depth=1
	s_load_b64 s[24:25], s[22:23], 0x0
                                        ; implicit-def: $vgpr3_vgpr4
	s_mov_b32 s2, exec_lo
	s_wait_kmcnt 0x0
	v_or_b32_e32 v6, s25, v8
	s_delay_alu instid0(VALU_DEP_1)
	v_cmpx_ne_u64_e32 0, v[5:6]
	s_wait_alu 0xfffe
	s_xor_b32 s26, exec_lo, s2
	s_cbranch_execz .LBB0_4
; %bb.3:                                ;   in Loop: Header=BB0_2 Depth=1
	s_cvt_f32_u32 s2, s24
	s_cvt_f32_u32 s27, s25
	s_sub_nc_u64 s[30:31], 0, s[24:25]
	s_wait_alu 0xfffe
	s_delay_alu instid0(SALU_CYCLE_1) | instskip(SKIP_1) | instid1(SALU_CYCLE_2)
	s_fmamk_f32 s2, s27, 0x4f800000, s2
	s_wait_alu 0xfffe
	v_s_rcp_f32 s2, s2
	s_delay_alu instid0(TRANS32_DEP_1) | instskip(SKIP_1) | instid1(SALU_CYCLE_2)
	s_mul_f32 s2, s2, 0x5f7ffffc
	s_wait_alu 0xfffe
	s_mul_f32 s27, s2, 0x2f800000
	s_wait_alu 0xfffe
	s_delay_alu instid0(SALU_CYCLE_2) | instskip(SKIP_1) | instid1(SALU_CYCLE_2)
	s_trunc_f32 s27, s27
	s_wait_alu 0xfffe
	s_fmamk_f32 s2, s27, 0xcf800000, s2
	s_cvt_u32_f32 s29, s27
	s_wait_alu 0xfffe
	s_delay_alu instid0(SALU_CYCLE_1) | instskip(SKIP_1) | instid1(SALU_CYCLE_2)
	s_cvt_u32_f32 s28, s2
	s_wait_alu 0xfffe
	s_mul_u64 s[34:35], s[30:31], s[28:29]
	s_wait_alu 0xfffe
	s_mul_hi_u32 s37, s28, s35
	s_mul_i32 s36, s28, s35
	s_mul_hi_u32 s2, s28, s34
	s_mul_i32 s33, s29, s34
	s_wait_alu 0xfffe
	s_add_nc_u64 s[36:37], s[2:3], s[36:37]
	s_mul_hi_u32 s27, s29, s34
	s_mul_hi_u32 s38, s29, s35
	s_add_co_u32 s2, s36, s33
	s_wait_alu 0xfffe
	s_add_co_ci_u32 s2, s37, s27
	s_mul_i32 s34, s29, s35
	s_add_co_ci_u32 s35, s38, 0
	s_wait_alu 0xfffe
	s_add_nc_u64 s[34:35], s[2:3], s[34:35]
	s_wait_alu 0xfffe
	v_add_co_u32 v3, s2, s28, s34
	s_delay_alu instid0(VALU_DEP_1) | instskip(SKIP_1) | instid1(VALU_DEP_1)
	s_cmp_lg_u32 s2, 0
	s_add_co_ci_u32 s29, s29, s35
	v_readfirstlane_b32 s28, v3
	s_wait_alu 0xfffe
	s_delay_alu instid0(VALU_DEP_1)
	s_mul_u64 s[30:31], s[30:31], s[28:29]
	s_wait_alu 0xfffe
	s_mul_hi_u32 s35, s28, s31
	s_mul_i32 s34, s28, s31
	s_mul_hi_u32 s2, s28, s30
	s_mul_i32 s33, s29, s30
	s_wait_alu 0xfffe
	s_add_nc_u64 s[34:35], s[2:3], s[34:35]
	s_mul_hi_u32 s27, s29, s30
	s_mul_hi_u32 s28, s29, s31
	s_wait_alu 0xfffe
	s_add_co_u32 s2, s34, s33
	s_add_co_ci_u32 s2, s35, s27
	s_mul_i32 s30, s29, s31
	s_add_co_ci_u32 s31, s28, 0
	s_wait_alu 0xfffe
	s_add_nc_u64 s[30:31], s[2:3], s[30:31]
	s_wait_alu 0xfffe
	v_add_co_u32 v6, s2, v3, s30
	s_delay_alu instid0(VALU_DEP_1) | instskip(SKIP_1) | instid1(VALU_DEP_1)
	s_cmp_lg_u32 s2, 0
	s_add_co_ci_u32 s2, s29, s31
	v_mul_hi_u32 v13, v7, v6
	s_wait_alu 0xfffe
	v_mad_co_u64_u32 v[3:4], null, v7, s2, 0
	v_mad_co_u64_u32 v[9:10], null, v8, v6, 0
	;; [unrolled: 1-line block ×3, first 2 shown]
	s_delay_alu instid0(VALU_DEP_3) | instskip(SKIP_1) | instid1(VALU_DEP_4)
	v_add_co_u32 v3, vcc_lo, v13, v3
	s_wait_alu 0xfffd
	v_add_co_ci_u32_e32 v4, vcc_lo, 0, v4, vcc_lo
	s_delay_alu instid0(VALU_DEP_2) | instskip(SKIP_1) | instid1(VALU_DEP_2)
	v_add_co_u32 v3, vcc_lo, v3, v9
	s_wait_alu 0xfffd
	v_add_co_ci_u32_e32 v3, vcc_lo, v4, v10, vcc_lo
	s_wait_alu 0xfffd
	v_add_co_ci_u32_e32 v4, vcc_lo, 0, v12, vcc_lo
	s_delay_alu instid0(VALU_DEP_2) | instskip(SKIP_1) | instid1(VALU_DEP_2)
	v_add_co_u32 v6, vcc_lo, v3, v11
	s_wait_alu 0xfffd
	v_add_co_ci_u32_e32 v9, vcc_lo, 0, v4, vcc_lo
	s_delay_alu instid0(VALU_DEP_2) | instskip(SKIP_1) | instid1(VALU_DEP_3)
	v_mul_lo_u32 v10, s25, v6
	v_mad_co_u64_u32 v[3:4], null, s24, v6, 0
	v_mul_lo_u32 v11, s24, v9
	s_delay_alu instid0(VALU_DEP_2) | instskip(NEXT) | instid1(VALU_DEP_2)
	v_sub_co_u32 v3, vcc_lo, v7, v3
	v_add3_u32 v4, v4, v11, v10
	s_delay_alu instid0(VALU_DEP_1) | instskip(SKIP_1) | instid1(VALU_DEP_1)
	v_sub_nc_u32_e32 v10, v8, v4
	s_wait_alu 0xfffd
	v_subrev_co_ci_u32_e64 v10, s2, s25, v10, vcc_lo
	v_add_co_u32 v11, s2, v6, 2
	s_wait_alu 0xf1ff
	v_add_co_ci_u32_e64 v12, s2, 0, v9, s2
	v_sub_co_u32 v13, s2, v3, s24
	v_sub_co_ci_u32_e32 v4, vcc_lo, v8, v4, vcc_lo
	s_wait_alu 0xf1ff
	v_subrev_co_ci_u32_e64 v10, s2, 0, v10, s2
	s_delay_alu instid0(VALU_DEP_3) | instskip(NEXT) | instid1(VALU_DEP_3)
	v_cmp_le_u32_e32 vcc_lo, s24, v13
	v_cmp_eq_u32_e64 s2, s25, v4
	s_wait_alu 0xfffd
	v_cndmask_b32_e64 v13, 0, -1, vcc_lo
	v_cmp_le_u32_e32 vcc_lo, s25, v10
	s_wait_alu 0xfffd
	v_cndmask_b32_e64 v14, 0, -1, vcc_lo
	v_cmp_le_u32_e32 vcc_lo, s24, v3
	;; [unrolled: 3-line block ×3, first 2 shown]
	s_wait_alu 0xfffd
	v_cndmask_b32_e64 v15, 0, -1, vcc_lo
	v_cmp_eq_u32_e32 vcc_lo, s25, v10
	s_wait_alu 0xf1ff
	s_delay_alu instid0(VALU_DEP_2)
	v_cndmask_b32_e64 v3, v15, v3, s2
	s_wait_alu 0xfffd
	v_cndmask_b32_e32 v10, v14, v13, vcc_lo
	v_add_co_u32 v13, vcc_lo, v6, 1
	s_wait_alu 0xfffd
	v_add_co_ci_u32_e32 v14, vcc_lo, 0, v9, vcc_lo
	s_delay_alu instid0(VALU_DEP_3) | instskip(SKIP_1) | instid1(VALU_DEP_2)
	v_cmp_ne_u32_e32 vcc_lo, 0, v10
	s_wait_alu 0xfffd
	v_cndmask_b32_e32 v4, v14, v12, vcc_lo
	v_cndmask_b32_e32 v10, v13, v11, vcc_lo
	v_cmp_ne_u32_e32 vcc_lo, 0, v3
	s_wait_alu 0xfffd
	s_delay_alu instid0(VALU_DEP_2)
	v_dual_cndmask_b32 v4, v9, v4 :: v_dual_cndmask_b32 v3, v6, v10
.LBB0_4:                                ;   in Loop: Header=BB0_2 Depth=1
	s_wait_alu 0xfffe
	s_and_not1_saveexec_b32 s2, s26
	s_cbranch_execz .LBB0_6
; %bb.5:                                ;   in Loop: Header=BB0_2 Depth=1
	v_cvt_f32_u32_e32 v3, s24
	s_sub_co_i32 s26, 0, s24
	s_delay_alu instid0(VALU_DEP_1) | instskip(NEXT) | instid1(TRANS32_DEP_1)
	v_rcp_iflag_f32_e32 v3, v3
	v_mul_f32_e32 v3, 0x4f7ffffe, v3
	s_delay_alu instid0(VALU_DEP_1) | instskip(SKIP_1) | instid1(VALU_DEP_1)
	v_cvt_u32_f32_e32 v3, v3
	s_wait_alu 0xfffe
	v_mul_lo_u32 v4, s26, v3
	s_delay_alu instid0(VALU_DEP_1) | instskip(NEXT) | instid1(VALU_DEP_1)
	v_mul_hi_u32 v4, v3, v4
	v_add_nc_u32_e32 v3, v3, v4
	s_delay_alu instid0(VALU_DEP_1) | instskip(NEXT) | instid1(VALU_DEP_1)
	v_mul_hi_u32 v3, v7, v3
	v_mul_lo_u32 v4, v3, s24
	v_add_nc_u32_e32 v6, 1, v3
	s_delay_alu instid0(VALU_DEP_2) | instskip(NEXT) | instid1(VALU_DEP_1)
	v_sub_nc_u32_e32 v4, v7, v4
	v_subrev_nc_u32_e32 v9, s24, v4
	v_cmp_le_u32_e32 vcc_lo, s24, v4
	s_wait_alu 0xfffd
	s_delay_alu instid0(VALU_DEP_2) | instskip(NEXT) | instid1(VALU_DEP_1)
	v_dual_cndmask_b32 v4, v4, v9 :: v_dual_cndmask_b32 v3, v3, v6
	v_cmp_le_u32_e32 vcc_lo, s24, v4
	v_mov_b32_e32 v4, v5
	s_delay_alu instid0(VALU_DEP_3) | instskip(SKIP_1) | instid1(VALU_DEP_1)
	v_add_nc_u32_e32 v6, 1, v3
	s_wait_alu 0xfffd
	v_cndmask_b32_e32 v3, v3, v6, vcc_lo
.LBB0_6:                                ;   in Loop: Header=BB0_2 Depth=1
	s_wait_alu 0xfffe
	s_or_b32 exec_lo, exec_lo, s2
	v_mul_lo_u32 v6, v4, s24
	s_delay_alu instid0(VALU_DEP_2)
	v_mul_lo_u32 v11, v3, s25
	s_load_b64 s[26:27], s[18:19], 0x0
	v_mad_co_u64_u32 v[9:10], null, v3, s24, 0
	s_load_b64 s[24:25], s[16:17], 0x0
	s_add_nc_u64 s[20:21], s[20:21], 1
	s_add_nc_u64 s[16:17], s[16:17], 8
	s_wait_alu 0xfffe
	v_cmp_ge_u64_e64 s2, s[20:21], s[10:11]
	s_add_nc_u64 s[18:19], s[18:19], 8
	s_add_nc_u64 s[22:23], s[22:23], 8
	v_add3_u32 v6, v10, v11, v6
	v_sub_co_u32 v7, vcc_lo, v7, v9
	s_wait_alu 0xfffd
	s_delay_alu instid0(VALU_DEP_2) | instskip(SKIP_2) | instid1(VALU_DEP_1)
	v_sub_co_ci_u32_e32 v6, vcc_lo, v8, v6, vcc_lo
	s_and_b32 vcc_lo, exec_lo, s2
	s_wait_kmcnt 0x0
	v_mul_lo_u32 v8, s26, v6
	v_mul_lo_u32 v9, s27, v7
	v_mad_co_u64_u32 v[43:44], null, s26, v7, v[43:44]
	v_mul_lo_u32 v6, s24, v6
	v_mul_lo_u32 v10, s25, v7
	v_mad_co_u64_u32 v[1:2], null, s24, v7, v[1:2]
	s_delay_alu instid0(VALU_DEP_4) | instskip(NEXT) | instid1(VALU_DEP_2)
	v_add3_u32 v44, v9, v44, v8
	v_add3_u32 v2, v10, v2, v6
	s_wait_alu 0xfffe
	s_cbranch_vccnz .LBB0_8
; %bb.7:                                ;   in Loop: Header=BB0_2 Depth=1
	v_dual_mov_b32 v8, v4 :: v_dual_mov_b32 v7, v3
	s_branch .LBB0_2
.LBB0_8:
	s_load_b64 s[0:1], s[0:1], 0x28
	s_lshl_b64 s[10:11], s[10:11], 3
	v_mul_hi_u32 v5, 0x3030304, v0
	s_wait_alu 0xfffe
	s_add_nc_u64 s[2:3], s[14:15], s[10:11]
	v_mov_b32_e32 v8, 0
	s_load_b64 s[2:3], s[2:3], 0x0
	v_mov_b32_e32 v7, 0
                                        ; implicit-def: $vgpr40
                                        ; implicit-def: $vgpr38
                                        ; implicit-def: $vgpr36
                                        ; implicit-def: $vgpr34
                                        ; implicit-def: $vgpr32
                                        ; implicit-def: $vgpr30
                                        ; implicit-def: $vgpr28
                                        ; implicit-def: $vgpr26
                                        ; implicit-def: $vgpr24
                                        ; implicit-def: $vgpr22
                                        ; implicit-def: $vgpr20
                                        ; implicit-def: $vgpr18
                                        ; implicit-def: $vgpr16
                                        ; implicit-def: $vgpr12
                                        ; implicit-def: $vgpr10
                                        ; implicit-def: $vgpr14
	s_delay_alu instid0(VALU_DEP_3) | instskip(NEXT) | instid1(VALU_DEP_1)
	v_mul_u32_u24_e32 v5, 0x55, v5
	v_sub_nc_u32_e32 v6, v0, v5
	v_mov_b32_e32 v5, 0
	s_wait_kmcnt 0x0
	v_cmp_gt_u64_e32 vcc_lo, s[0:1], v[3:4]
	s_and_saveexec_b32 s1, vcc_lo
	s_cbranch_execz .LBB0_12
; %bb.9:
	v_dual_mov_b32 v7, 0 :: v_dual_mov_b32 v8, 0
	s_mov_b32 s14, exec_lo
                                        ; implicit-def: $vgpr13
                                        ; implicit-def: $vgpr9
                                        ; implicit-def: $vgpr11
                                        ; implicit-def: $vgpr15
                                        ; implicit-def: $vgpr17
                                        ; implicit-def: $vgpr19
                                        ; implicit-def: $vgpr21
                                        ; implicit-def: $vgpr23
                                        ; implicit-def: $vgpr25
                                        ; implicit-def: $vgpr27
                                        ; implicit-def: $vgpr29
                                        ; implicit-def: $vgpr31
                                        ; implicit-def: $vgpr33
                                        ; implicit-def: $vgpr35
                                        ; implicit-def: $vgpr37
                                        ; implicit-def: $vgpr39
	v_cmpx_gt_u32_e32 0x50, v6
	s_cbranch_execz .LBB0_11
; %bb.10:
	s_add_nc_u64 s[10:11], s[12:13], s[10:11]
	v_lshlrev_b64_e32 v[10:11], 3, v[43:44]
	s_load_b64 s[10:11], s[10:11], 0x0
	s_wait_kmcnt 0x0
	v_mul_lo_u32 v0, s11, v3
	v_mul_lo_u32 v5, s10, v4
	v_mad_co_u64_u32 v[7:8], null, s10, v3, 0
	s_delay_alu instid0(VALU_DEP_1) | instskip(NEXT) | instid1(VALU_DEP_1)
	v_add3_u32 v8, v8, v5, v0
	v_lshlrev_b64_e32 v[8:9], 3, v[7:8]
	v_mov_b32_e32 v7, 0
	s_delay_alu instid0(VALU_DEP_2) | instskip(SKIP_1) | instid1(VALU_DEP_3)
	v_add_co_u32 v0, s0, s4, v8
	s_wait_alu 0xf1ff
	v_add_co_ci_u32_e64 v5, s0, s5, v9, s0
	s_delay_alu instid0(VALU_DEP_3) | instskip(NEXT) | instid1(VALU_DEP_3)
	v_lshlrev_b64_e32 v[7:8], 3, v[6:7]
	v_add_co_u32 v0, s0, v0, v10
	s_wait_alu 0xf1ff
	s_delay_alu instid0(VALU_DEP_3) | instskip(NEXT) | instid1(VALU_DEP_2)
	v_add_co_ci_u32_e64 v5, s0, v5, v11, s0
	v_add_co_u32 v9, s0, v0, v7
	s_wait_alu 0xf1ff
	s_delay_alu instid0(VALU_DEP_2)
	v_add_co_ci_u32_e64 v10, s0, v5, v8, s0
	s_clause 0x10
	global_load_b64 v[7:8], v[9:10], off
	global_load_b64 v[39:40], v[9:10], off offset:640
	global_load_b64 v[37:38], v[9:10], off offset:1280
	global_load_b64 v[35:36], v[9:10], off offset:1920
	global_load_b64 v[33:34], v[9:10], off offset:2560
	global_load_b64 v[31:32], v[9:10], off offset:3200
	global_load_b64 v[29:30], v[9:10], off offset:3840
	global_load_b64 v[27:28], v[9:10], off offset:4480
	global_load_b64 v[25:26], v[9:10], off offset:5120
	global_load_b64 v[23:24], v[9:10], off offset:5760
	global_load_b64 v[21:22], v[9:10], off offset:6400
	global_load_b64 v[19:20], v[9:10], off offset:7040
	global_load_b64 v[17:18], v[9:10], off offset:7680
	global_load_b64 v[15:16], v[9:10], off offset:8320
	global_load_b64 v[11:12], v[9:10], off offset:8960
	global_load_b64 v[13:14], v[9:10], off offset:9600
	global_load_b64 v[9:10], v[9:10], off offset:10240
.LBB0_11:
	s_or_b32 exec_lo, exec_lo, s14
	v_mov_b32_e32 v5, v6
.LBB0_12:
	s_wait_alu 0xfffe
	s_or_b32 exec_lo, exec_lo, s1
	s_wait_loadcnt 0x0
	v_dual_add_f32 v70, v39, v9 :: v_dual_sub_f32 v77, v38, v14
	v_dual_sub_f32 v78, v40, v10 :: v_dual_add_f32 v69, v37, v13
	v_mul_hi_u32 v0, 0xaaaaaaab, v41
	s_delay_alu instid0(VALU_DEP_3) | instskip(SKIP_1) | instid1(VALU_DEP_4)
	v_dual_mul_f32 v62, 0x3f3d2fb0, v70 :: v_dual_add_f32 v65, v33, v15
	v_cmp_gt_u32_e64 s1, 0x50, v6
	v_dual_mul_f32 v47, 0x3f3d2fb0, v69 :: v_dual_add_f32 v64, v35, v11
	s_delay_alu instid0(VALU_DEP_3) | instskip(SKIP_2) | instid1(VALU_DEP_4)
	v_fmamk_f32 v43, v78, 0xbf2c7751, v62
	v_mul_f32_e32 v54, 0x3f6eb680, v70
	v_mul_f32_e32 v58, 0x3dbcf732, v69
	v_dual_add_f32 v63, v31, v17 :: v_dual_mul_f32 v46, 0xbf1a4643, v64
	s_delay_alu instid0(VALU_DEP_3) | instskip(SKIP_3) | instid1(VALU_DEP_4)
	v_dual_add_f32 v43, v7, v43 :: v_dual_fmamk_f32 v42, v78, 0xbeb8f4ab, v54
	v_sub_f32_e32 v75, v36, v12
	v_lshrrev_b32_e32 v0, 1, v0
	v_fmamk_f32 v45, v77, 0xbf2c7751, v47
	v_dual_sub_f32 v73, v34, v16 :: v_dual_add_f32 v44, v7, v42
	v_fmamk_f32 v48, v77, 0xbf7ee86f, v58
	v_fmamk_f32 v50, v75, 0xbf4c4adb, v46
	v_lshl_add_u32 v0, v0, 1, v0
	v_sub_f32_e32 v74, v32, v18
	v_dual_add_f32 v45, v44, v45 :: v_dual_mul_f32 v42, 0x3ee437d1, v64
	v_dual_add_f32 v48, v43, v48 :: v_dual_mul_f32 v43, 0x3dbcf732, v65
	v_dual_mul_f32 v44, 0xbf7ba420, v65 :: v_dual_sub_f32 v67, v30, v20
	s_delay_alu instid0(VALU_DEP_3) | instskip(NEXT) | instid1(VALU_DEP_3)
	v_fmamk_f32 v49, v75, 0xbf65296c, v42
	v_dual_add_f32 v51, v50, v48 :: v_dual_mul_f32 v48, 0xbf59a7d5, v63
	v_sub_nc_u32_e32 v0, v41, v0
	s_delay_alu instid0(VALU_DEP_3)
	v_dual_sub_f32 v66, v26, v24 :: v_dual_add_f32 v49, v49, v45
	v_fmamk_f32 v52, v73, 0xbe3c28d5, v44
	v_fmamk_f32 v50, v73, 0xbf7ee86f, v43
	v_mul_f32_e32 v45, 0xbe8c1d8e, v63
	v_fmamk_f32 v56, v74, 0x3f06c442, v48
	v_mul_u32_u24_e32 v0, 0x550, v0
	v_add_f32_e32 v55, v52, v51
	v_add_f32_e32 v53, v50, v49
	v_fmamk_f32 v52, v74, 0xbf763a35, v45
	s_delay_alu instid0(VALU_DEP_3) | instskip(NEXT) | instid1(VALU_DEP_2)
	v_dual_add_f32 v55, v56, v55 :: v_dual_lshlrev_b32 v0, 2, v0
	v_dual_add_f32 v50, v29, v19 :: v_dual_add_f32 v57, v52, v53
	v_add_f32_e32 v52, v27, v21
	v_sub_f32_e32 v68, v28, v22
	s_delay_alu instid0(VALU_DEP_3) | instskip(SKIP_1) | instid1(VALU_DEP_4)
	v_mul_f32_e32 v49, 0xbf1a4643, v50
	v_mul_f32_e32 v51, 0xbe8c1d8e, v50
	;; [unrolled: 1-line block ×4, first 2 shown]
	s_delay_alu instid0(VALU_DEP_2) | instskip(NEXT) | instid1(VALU_DEP_2)
	v_fmamk_f32 v71, v68, 0xbf06c442, v53
	v_fmamk_f32 v72, v68, 0x3f65296c, v59
	;; [unrolled: 1-line block ×3, first 2 shown]
	s_delay_alu instid0(VALU_DEP_1) | instskip(NEXT) | instid1(VALU_DEP_1)
	v_dual_fmamk_f32 v56, v67, 0xbf4c4adb, v49 :: v_dual_add_f32 v55, v60, v55
	v_dual_add_f32 v56, v56, v57 :: v_dual_add_f32 v57, v25, v23
	s_delay_alu instid0(VALU_DEP_1) | instskip(NEXT) | instid1(VALU_DEP_2)
	v_add_f32_e32 v41, v71, v56
	v_mul_f32_e32 v61, 0xbf7ba420, v57
	s_delay_alu instid0(VALU_DEP_4) | instskip(NEXT) | instid1(VALU_DEP_2)
	v_dual_add_f32 v55, v72, v55 :: v_dual_mul_f32 v60, 0x3f6eb680, v57
	v_fmamk_f32 v56, v66, 0xbe3c28d5, v61
	s_delay_alu instid0(VALU_DEP_1) | instskip(NEXT) | instid1(VALU_DEP_1)
	v_dual_fmamk_f32 v71, v66, 0x3eb8f4ab, v60 :: v_dual_add_f32 v56, v56, v41
	v_add_f32_e32 v55, v71, v55
	s_and_saveexec_b32 s0, s1
	s_cbranch_execz .LBB0_14
; %bb.13:
	v_mul_f32_e32 v76, 0xbe3c28d5, v78
	v_mul_f32_e32 v85, 0x3f65296c, v67
	;; [unrolled: 1-line block ×4, first 2 shown]
	v_dual_mul_f32 v72, 0xbf2c7751, v78 :: v_dual_mul_f32 v41, 0xbf2c7751, v77
	v_fmamk_f32 v80, v70, 0xbf7ba420, v76
	v_mul_f32_e32 v71, 0xbeb8f4ab, v78
	v_fma_f32 v76, 0xbf7ba420, v70, -v76
	v_mul_f32_e32 v83, 0xbf4c4adb, v74
	s_delay_alu instid0(VALU_DEP_4) | instskip(NEXT) | instid1(VALU_DEP_3)
	v_dual_mul_f32 v93, 0x3f2c7751, v75 :: v_dual_add_f32 v80, v7, v80
	v_dual_mul_f32 v79, 0x3eb8f4ab, v77 :: v_dual_add_f32 v76, v7, v76
	v_dual_sub_f32 v54, v54, v71 :: v_dual_sub_f32 v41, v47, v41
	v_sub_f32_e32 v62, v62, v72
	s_delay_alu instid0(VALU_DEP_3) | instskip(NEXT) | instid1(VALU_DEP_2)
	v_fmamk_f32 v84, v69, 0x3f6eb680, v79
	v_add_f32_e32 v62, v7, v62
	s_delay_alu instid0(VALU_DEP_2) | instskip(SKIP_3) | instid1(VALU_DEP_4)
	v_dual_add_f32 v80, v80, v84 :: v_dual_mul_f32 v81, 0xbf06c442, v75
	v_fma_f32 v79, 0x3f6eb680, v69, -v79
	v_mul_f32_e32 v84, 0x3f65296c, v77
	v_fmamk_f32 v91, v50, 0x3ee437d1, v85
	v_fmamk_f32 v88, v64, 0xbf59a7d5, v81
	s_delay_alu instid0(VALU_DEP_4) | instskip(NEXT) | instid1(VALU_DEP_2)
	v_add_f32_e32 v76, v76, v79
	v_add_f32_e32 v80, v88, v80
	v_fmamk_f32 v88, v63, 0xbf1a4643, v83
	v_mul_f32_e32 v89, 0xbf7ee86f, v75
	v_fma_f32 v81, 0xbf59a7d5, v64, -v81
	s_delay_alu instid0(VALU_DEP_1) | instskip(SKIP_1) | instid1(VALU_DEP_4)
	v_add_f32_e32 v76, v81, v76
	v_fma_f32 v81, 0xbf1a4643, v63, -v83
	v_fmamk_f32 v83, v64, 0x3dbcf732, v89
	v_mul_f32_e32 v82, 0x3f2c7751, v73
	s_delay_alu instid0(VALU_DEP_1) | instskip(NEXT) | instid1(VALU_DEP_1)
	v_fmamk_f32 v90, v65, 0x3f3d2fb0, v82
	v_dual_mul_f32 v87, 0xbf06c442, v78 :: v_dual_add_f32 v80, v90, v80
	s_delay_alu instid0(VALU_DEP_1) | instskip(SKIP_2) | instid1(VALU_DEP_3)
	v_dual_add_f32 v80, v88, v80 :: v_dual_fmamk_f32 v79, v70, 0xbf59a7d5, v87
	v_fmamk_f32 v88, v69, 0x3ee437d1, v84
	v_fma_f32 v84, 0x3ee437d1, v69, -v84
	v_add_f32_e32 v80, v91, v80
	s_delay_alu instid0(VALU_DEP_4) | instskip(SKIP_1) | instid1(VALU_DEP_2)
	v_add_f32_e32 v79, v7, v79
	v_mul_f32_e32 v91, 0xbe3c28d5, v67
	v_dual_add_f32 v79, v79, v88 :: v_dual_mul_f32 v88, 0x3f7ee86f, v66
	s_delay_alu instid0(VALU_DEP_1) | instskip(SKIP_1) | instid1(VALU_DEP_1)
	v_add_f32_e32 v79, v83, v79
	v_fma_f32 v82, 0x3f3d2fb0, v65, -v82
	v_add_f32_e32 v76, v82, v76
	v_mul_f32_e32 v82, 0x3f4c4adb, v73
	s_delay_alu instid0(VALU_DEP_2) | instskip(SKIP_1) | instid1(VALU_DEP_3)
	v_add_f32_e32 v76, v81, v76
	v_fma_f32 v81, 0x3ee437d1, v50, -v85
	v_fmamk_f32 v83, v65, 0xbf1a4643, v82
	v_mul_f32_e32 v85, 0xbeb8f4ab, v74
	s_delay_alu instid0(VALU_DEP_2) | instskip(NEXT) | instid1(VALU_DEP_2)
	v_add_f32_e32 v79, v83, v79
	v_fmamk_f32 v83, v63, 0x3f6eb680, v85
	v_mul_f32_e32 v86, 0xbf763a35, v68
	v_add_f32_e32 v81, v81, v76
	s_delay_alu instid0(VALU_DEP_3) | instskip(SKIP_1) | instid1(VALU_DEP_4)
	v_add_f32_e32 v79, v83, v79
	v_fmamk_f32 v83, v50, 0xbf7ba420, v91
	v_fmamk_f32 v90, v52, 0xbe8c1d8e, v86
	v_fma_f32 v86, 0xbe8c1d8e, v52, -v86
	s_delay_alu instid0(VALU_DEP_2) | instskip(NEXT) | instid1(VALU_DEP_2)
	v_dual_add_f32 v83, v83, v79 :: v_dual_add_f32 v80, v90, v80
	v_dual_fmamk_f32 v90, v57, 0x3dbcf732, v88 :: v_dual_add_f32 v81, v86, v81
	v_mul_f32_e32 v86, 0x3f2c7751, v68
	s_delay_alu instid0(VALU_DEP_2) | instskip(SKIP_2) | instid1(VALU_DEP_4)
	v_add_f32_e32 v76, v90, v80
	v_fma_f32 v80, 0xbf59a7d5, v70, -v87
	v_fma_f32 v87, 0x3dbcf732, v57, -v88
	v_fmamk_f32 v88, v52, 0x3f3d2fb0, v86
	v_mul_f32_e32 v90, 0xbf4c4adb, v78
	v_fma_f32 v91, 0xbf7ba420, v50, -v91
	v_add_f32_e32 v80, v7, v80
	v_add_f32_e32 v79, v87, v81
	;; [unrolled: 1-line block ×3, first 2 shown]
	s_delay_alu instid0(VALU_DEP_3) | instskip(SKIP_2) | instid1(VALU_DEP_3)
	v_dual_fmamk_f32 v83, v70, 0xbf1a4643, v90 :: v_dual_add_f32 v80, v80, v84
	v_fma_f32 v84, 0x3dbcf732, v64, -v89
	v_mul_f32_e32 v87, 0x3f763a35, v77
	v_add_f32_e32 v83, v7, v83
	v_fma_f32 v82, 0xbf1a4643, v65, -v82
	s_delay_alu instid0(VALU_DEP_4)
	v_add_f32_e32 v80, v84, v80
	v_mul_f32_e32 v84, 0xbf763a35, v66
	v_fmamk_f32 v88, v69, 0xbe8c1d8e, v87
	v_mul_f32_e32 v89, 0xbeb8f4ab, v75
	v_fma_f32 v87, 0xbe8c1d8e, v69, -v87
	v_add_f32_e32 v80, v82, v80
	v_fma_f32 v82, 0x3f6eb680, v63, -v85
	v_fmamk_f32 v85, v57, 0xbe8c1d8e, v84
	v_dual_add_f32 v83, v83, v88 :: v_dual_fmamk_f32 v88, v64, 0x3f6eb680, v89
	s_delay_alu instid0(VALU_DEP_3) | instskip(NEXT) | instid1(VALU_DEP_3)
	v_add_f32_e32 v82, v82, v80
	v_dual_add_f32 v80, v85, v81 :: v_dual_mul_f32 v85, 0x3f7ee86f, v74
	s_delay_alu instid0(VALU_DEP_3) | instskip(NEXT) | instid1(VALU_DEP_3)
	v_add_f32_e32 v81, v88, v83
	v_dual_fmamk_f32 v83, v65, 0xbf59a7d5, v92 :: v_dual_add_f32 v82, v91, v82
	v_fma_f32 v86, 0x3f3d2fb0, v52, -v86
	v_fma_f32 v88, 0xbf1a4643, v70, -v90
	s_delay_alu instid0(VALU_DEP_3) | instskip(NEXT) | instid1(VALU_DEP_3)
	v_dual_mul_f32 v90, 0xbf2c7751, v67 :: v_dual_add_f32 v81, v83, v81
	v_dual_fmamk_f32 v83, v63, 0x3dbcf732, v85 :: v_dual_add_f32 v82, v86, v82
	s_delay_alu instid0(VALU_DEP_3) | instskip(SKIP_2) | instid1(VALU_DEP_4)
	v_add_f32_e32 v86, v7, v88
	v_fma_f32 v85, 0x3dbcf732, v63, -v85
	v_mul_f32_e32 v91, 0x3f06c442, v77
	v_add_f32_e32 v81, v83, v81
	v_fmamk_f32 v83, v50, 0x3f3d2fb0, v90
	v_add_f32_e32 v86, v86, v87
	v_fma_f32 v87, 0x3f6eb680, v64, -v89
	s_delay_alu instid0(VALU_DEP_3) | instskip(NEXT) | instid1(VALU_DEP_2)
	v_add_f32_e32 v81, v83, v81
	v_add_f32_e32 v86, v87, v86
	v_fma_f32 v87, 0xbf59a7d5, v65, -v92
	s_delay_alu instid0(VALU_DEP_1) | instskip(NEXT) | instid1(VALU_DEP_1)
	v_add_f32_e32 v86, v87, v86
	v_dual_add_f32 v85, v85, v86 :: v_dual_mul_f32 v88, 0xbe3c28d5, v68
	s_delay_alu instid0(VALU_DEP_1) | instskip(NEXT) | instid1(VALU_DEP_1)
	v_fmamk_f32 v83, v52, 0xbf7ba420, v88
	v_add_f32_e32 v81, v83, v81
	v_mul_f32_e32 v83, 0x3f65296c, v66
	v_fma_f32 v84, 0xbe8c1d8e, v57, -v84
	s_delay_alu instid0(VALU_DEP_1) | instskip(NEXT) | instid1(VALU_DEP_1)
	v_dual_fmamk_f32 v87, v57, 0x3ee437d1, v83 :: v_dual_add_f32 v82, v84, v82
	v_add_f32_e32 v81, v87, v81
	v_fma_f32 v86, 0x3f3d2fb0, v50, -v90
	s_delay_alu instid0(VALU_DEP_1) | instskip(SKIP_1) | instid1(VALU_DEP_1)
	v_add_f32_e32 v85, v86, v85
	v_fma_f32 v86, 0xbf7ba420, v52, -v88
	v_dual_fmamk_f32 v92, v69, 0xbf59a7d5, v91 :: v_dual_add_f32 v85, v86, v85
	v_mul_f32_e32 v84, 0xbf763a35, v78
	v_fma_f32 v86, 0xbf59a7d5, v69, -v91
	s_delay_alu instid0(VALU_DEP_2) | instskip(NEXT) | instid1(VALU_DEP_1)
	v_fmamk_f32 v89, v70, 0xbe8c1d8e, v84
	v_add_f32_e32 v89, v7, v89
	s_delay_alu instid0(VALU_DEP_1) | instskip(SKIP_1) | instid1(VALU_DEP_1)
	v_add_f32_e32 v87, v89, v92
	v_fma_f32 v84, 0xbe8c1d8e, v70, -v84
	v_dual_add_f32 v84, v7, v84 :: v_dual_mul_f32 v91, 0x3f7ee86f, v67
	v_fma_f32 v83, 0x3ee437d1, v57, -v83
	s_delay_alu instid0(VALU_DEP_2) | instskip(SKIP_2) | instid1(VALU_DEP_2)
	v_add_f32_e32 v84, v84, v86
	v_fma_f32 v86, 0x3f3d2fb0, v64, -v93
	v_fmamk_f32 v89, v64, 0x3f3d2fb0, v93
	v_dual_add_f32 v83, v83, v85 :: v_dual_add_f32 v84, v86, v84
	s_delay_alu instid0(VALU_DEP_2) | instskip(NEXT) | instid1(VALU_DEP_1)
	v_dual_mul_f32 v90, 0xbf65296c, v73 :: v_dual_add_f32 v87, v89, v87
	v_fmamk_f32 v88, v65, 0x3ee437d1, v90
	v_fma_f32 v86, 0x3ee437d1, v65, -v90
	s_delay_alu instid0(VALU_DEP_1) | instskip(NEXT) | instid1(VALU_DEP_1)
	v_dual_mul_f32 v89, 0xbe3c28d5, v74 :: v_dual_add_f32 v84, v86, v84
	v_dual_add_f32 v87, v88, v87 :: v_dual_fmamk_f32 v88, v63, 0xbf7ba420, v89
	v_fma_f32 v86, 0xbf7ba420, v63, -v89
	v_mul_f32_e32 v93, 0xbe3c28d5, v77
	s_delay_alu instid0(VALU_DEP_3) | instskip(NEXT) | instid1(VALU_DEP_3)
	v_dual_add_f32 v87, v88, v87 :: v_dual_fmamk_f32 v88, v50, 0x3dbcf732, v91
	v_add_f32_e32 v84, v86, v84
	v_fma_f32 v91, 0x3dbcf732, v50, -v91
	s_delay_alu instid0(VALU_DEP_3) | instskip(NEXT) | instid1(VALU_DEP_2)
	v_dual_add_f32 v87, v88, v87 :: v_dual_mul_f32 v88, 0xbf7ee86f, v78
	v_add_f32_e32 v84, v91, v84
	v_mul_f32_e32 v78, 0xbf65296c, v78
	s_delay_alu instid0(VALU_DEP_3) | instskip(SKIP_2) | instid1(VALU_DEP_3)
	v_fmamk_f32 v89, v70, 0x3dbcf732, v88
	v_mul_f32_e32 v85, 0xbeb8f4ab, v68
	v_fma_f32 v88, 0x3dbcf732, v70, -v88
	v_dual_add_f32 v86, v7, v89 :: v_dual_fmamk_f32 v89, v69, 0xbf7ba420, v93
	s_delay_alu instid0(VALU_DEP_2) | instskip(SKIP_1) | instid1(VALU_DEP_3)
	v_add_f32_e32 v88, v7, v88
	v_fma_f32 v93, 0xbf7ba420, v69, -v93
	v_dual_add_f32 v86, v86, v89 :: v_dual_fmamk_f32 v89, v64, 0xbe8c1d8e, v94
	v_mul_f32_e32 v95, 0xbf7ee86f, v77
	s_delay_alu instid0(VALU_DEP_3) | instskip(NEXT) | instid1(VALU_DEP_3)
	v_add_f32_e32 v88, v88, v93
	v_dual_mul_f32 v77, 0xbf4c4adb, v77 :: v_dual_add_f32 v86, v89, v86
	v_fmamk_f32 v90, v52, 0x3f6eb680, v85
	v_mul_f32_e32 v92, 0xbf4c4adb, v66
	v_fma_f32 v85, 0x3f6eb680, v52, -v85
	v_mul_f32_e32 v91, 0xbf65296c, v74
	s_delay_alu instid0(VALU_DEP_3) | instskip(NEXT) | instid1(VALU_DEP_3)
	v_dual_add_f32 v87, v90, v87 :: v_dual_fmamk_f32 v90, v57, 0xbf1a4643, v92
	v_add_f32_e32 v84, v85, v84
	v_fma_f32 v92, 0xbf1a4643, v57, -v92
	s_delay_alu instid0(VALU_DEP_3) | instskip(NEXT) | instid1(VALU_DEP_2)
	v_dual_add_f32 v87, v90, v87 :: v_dual_mul_f32 v90, 0x3eb8f4ab, v73
	v_add_f32_e32 v84, v92, v84
	v_fmamk_f32 v92, v70, 0x3ee437d1, v78
	s_delay_alu instid0(VALU_DEP_3) | instskip(SKIP_1) | instid1(VALU_DEP_2)
	v_fmamk_f32 v89, v65, 0x3f6eb680, v90
	v_fma_f32 v90, 0x3f6eb680, v65, -v90
	v_dual_add_f32 v85, v89, v86 :: v_dual_fmamk_f32 v86, v63, 0x3ee437d1, v91
	v_mul_f32_e32 v89, 0xbf06c442, v67
	s_delay_alu instid0(VALU_DEP_2) | instskip(NEXT) | instid1(VALU_DEP_2)
	v_add_f32_e32 v85, v86, v85
	v_fmamk_f32 v86, v50, 0xbf59a7d5, v89
	s_delay_alu instid0(VALU_DEP_1) | instskip(SKIP_1) | instid1(VALU_DEP_1)
	v_add_f32_e32 v85, v86, v85
	v_fma_f32 v93, 0xbe8c1d8e, v64, -v94
	v_add_f32_e32 v88, v93, v88
	s_delay_alu instid0(VALU_DEP_1)
	v_add_f32_e32 v86, v90, v88
	v_fma_f32 v88, 0x3ee437d1, v63, -v91
	v_fmamk_f32 v91, v69, 0xbf1a4643, v77
	v_mul_f32_e32 v93, 0x3f4c4adb, v68
	v_add_f32_e32 v90, v7, v92
	v_fma_f32 v69, 0xbf1a4643, v69, -v77
	v_add_f32_e32 v86, v88, v86
	v_fma_f32 v88, 0xbf59a7d5, v50, -v89
	v_fmamk_f32 v94, v52, 0xbf1a4643, v93
	v_mul_f32_e32 v92, 0x3e3c28d5, v75
	v_add_f32_e32 v89, v90, v91
	s_delay_alu instid0(VALU_DEP_4) | instskip(NEXT) | instid1(VALU_DEP_3)
	v_dual_mul_f32 v91, 0x3f763a35, v73 :: v_dual_add_f32 v86, v88, v86
	v_dual_add_f32 v85, v94, v85 :: v_dual_fmamk_f32 v90, v64, 0xbf7ba420, v92
	v_fma_f32 v88, 0xbf1a4643, v52, -v93
	v_fma_f32 v64, 0xbf7ba420, v64, -v92
	s_delay_alu instid0(VALU_DEP_3)
	v_dual_mul_f32 v92, 0xbf4c4adb, v67 :: v_dual_add_f32 v89, v90, v89
	v_fmamk_f32 v90, v65, 0xbe8c1d8e, v91
	v_mul_f32_e32 v93, 0x3f2c7751, v74
	v_add_f32_e32 v86, v88, v86
	v_fma_f32 v70, 0x3ee437d1, v70, -v78
	v_fma_f32 v65, 0xbe8c1d8e, v65, -v91
	s_delay_alu instid0(VALU_DEP_4) | instskip(SKIP_1) | instid1(VALU_DEP_4)
	v_dual_add_f32 v88, v90, v89 :: v_dual_fmamk_f32 v89, v63, 0x3f3d2fb0, v93
	v_mul_f32_e32 v90, 0xbeb8f4ab, v67
	v_dual_add_f32 v70, v7, v70 :: v_dual_mul_f32 v67, 0x3f763a35, v67
	v_mul_f32_e32 v91, 0xbf06c442, v68
	s_delay_alu instid0(VALU_DEP_3) | instskip(SKIP_1) | instid1(VALU_DEP_4)
	v_dual_add_f32 v88, v89, v88 :: v_dual_fmamk_f32 v89, v50, 0x3f6eb680, v90
	v_mul_f32_e32 v77, 0xbf763a35, v74
	v_dual_add_f32 v69, v70, v69 :: v_dual_mul_f32 v70, 0xbf7ee86f, v68
	v_fma_f32 v47, 0x3f3d2fb0, v63, -v93
	s_delay_alu instid0(VALU_DEP_4) | instskip(NEXT) | instid1(VALU_DEP_3)
	v_dual_add_f32 v88, v89, v88 :: v_dual_add_f32 v89, v7, v39
	v_add_f32_e32 v64, v64, v69
	s_delay_alu instid0(VALU_DEP_2) | instskip(NEXT) | instid1(VALU_DEP_2)
	v_dual_sub_f32 v58, v58, v95 :: v_dual_add_f32 v89, v89, v37
	v_add_f32_e32 v64, v65, v64
	s_delay_alu instid0(VALU_DEP_2) | instskip(SKIP_3) | instid1(VALU_DEP_3)
	v_add_f32_e32 v89, v89, v35
	v_fmamk_f32 v69, v52, 0x3dbcf732, v70
	v_mul_f32_e32 v94, 0xbf65296c, v75
	v_mul_f32_e32 v75, 0xbf4c4adb, v75
	v_dual_add_f32 v69, v69, v88 :: v_dual_mul_f32 v78, 0xbf7ee86f, v73
	v_mul_f32_e32 v73, 0xbe3c28d5, v73
	v_dual_add_f32 v88, v89, v33 :: v_dual_mul_f32 v89, 0xbe3c28d5, v66
	s_delay_alu instid0(VALU_DEP_1) | instskip(NEXT) | instid1(VALU_DEP_1)
	v_dual_mul_f32 v65, 0x3f2c7751, v66 :: v_dual_add_f32 v72, v88, v31
	v_fmamk_f32 v71, v57, 0x3f3d2fb0, v65
	v_add_f32_e32 v7, v7, v54
	v_mul_f32_e32 v74, 0x3f06c442, v74
	s_delay_alu instid0(VALU_DEP_4) | instskip(SKIP_4) | instid1(VALU_DEP_1)
	v_add_f32_e32 v72, v72, v29
	v_add_f32_e32 v54, v62, v58
	v_fma_f32 v65, 0x3f3d2fb0, v57, -v65
	v_add_f32_e32 v7, v7, v41
	v_dual_sub_f32 v41, v42, v94 :: v_dual_mul_f32 v68, 0x3f65296c, v68
	v_dual_add_f32 v42, v47, v64 :: v_dual_add_f32 v7, v41, v7
	v_dual_sub_f32 v41, v43, v78 :: v_dual_add_f32 v72, v72, v27
	v_sub_f32_e32 v46, v46, v75
	s_delay_alu instid0(VALU_DEP_2) | instskip(NEXT) | instid1(VALU_DEP_1)
	v_dual_add_f32 v7, v41, v7 :: v_dual_add_f32 v58, v72, v25
	v_dual_add_f32 v47, v58, v23 :: v_dual_mul_f32 v88, 0x3eb8f4ab, v66
	s_delay_alu instid0(VALU_DEP_1) | instskip(SKIP_1) | instid1(VALU_DEP_2)
	v_dual_mul_f32 v66, 0xbf06c442, v66 :: v_dual_add_f32 v43, v47, v21
	v_fma_f32 v47, 0x3f6eb680, v50, -v90
	v_fmamk_f32 v95, v57, 0xbf59a7d5, v66
	s_delay_alu instid0(VALU_DEP_3) | instskip(SKIP_2) | instid1(VALU_DEP_3)
	v_add_f32_e32 v41, v43, v19
	v_dual_sub_f32 v43, v45, v77 :: v_dual_add_f32 v46, v46, v54
	v_sub_f32_e32 v45, v51, v67
	v_add_f32_e32 v41, v41, v17
	s_delay_alu instid0(VALU_DEP_3) | instskip(SKIP_1) | instid1(VALU_DEP_3)
	v_add_f32_e32 v7, v43, v7
	v_dual_sub_f32 v43, v49, v92 :: v_dual_sub_f32 v44, v44, v73
	v_dual_add_f32 v41, v41, v15 :: v_dual_add_f32 v42, v47, v42
	s_delay_alu instid0(VALU_DEP_2) | instskip(SKIP_1) | instid1(VALU_DEP_3)
	v_dual_add_f32 v7, v43, v7 :: v_dual_add_f32 v44, v44, v46
	v_dual_sub_f32 v43, v53, v91 :: v_dual_sub_f32 v46, v48, v74
	v_add_f32_e32 v41, v41, v11
	s_delay_alu instid0(VALU_DEP_2) | instskip(SKIP_2) | instid1(VALU_DEP_4)
	v_dual_add_f32 v7, v43, v7 :: v_dual_add_f32 v44, v46, v44
	v_fma_f32 v46, 0x3dbcf732, v52, -v70
	v_sub_f32_e32 v43, v61, v89
	v_add_f32_e32 v41, v41, v13
	s_delay_alu instid0(VALU_DEP_4) | instskip(SKIP_1) | instid1(VALU_DEP_4)
	v_add_f32_e32 v44, v45, v44
	v_sub_f32_e32 v45, v59, v68
	v_dual_add_f32 v7, v43, v7 :: v_dual_add_f32 v42, v46, v42
	v_fma_f32 v46, 0xbf59a7d5, v57, -v66
	v_sub_f32_e32 v47, v60, v88
	s_delay_alu instid0(VALU_DEP_4) | instskip(SKIP_1) | instid1(VALU_DEP_4)
	v_add_f32_e32 v44, v45, v44
	v_mul_u32_u24_e32 v45, 0x44, v6
	v_dual_add_f32 v42, v46, v42 :: v_dual_add_f32 v41, v9, v41
	s_delay_alu instid0(VALU_DEP_3) | instskip(NEXT) | instid1(VALU_DEP_3)
	v_add_f32_e32 v44, v47, v44
	v_add3_u32 v43, 0, v45, v0
	v_dual_add_f32 v45, v65, v86 :: v_dual_add_f32 v46, v71, v85
	v_add_f32_e32 v47, v95, v69
	ds_store_2addr_b32 v43, v41, v7 offset1:1
	ds_store_2addr_b32 v43, v44, v42 offset0:2 offset1:3
	ds_store_2addr_b32 v43, v45, v84 offset0:4 offset1:5
	;; [unrolled: 1-line block ×7, first 2 shown]
	ds_store_b32 v43, v56 offset:64
.LBB0_14:
	s_wait_alu 0xfffe
	s_or_b32 exec_lo, exec_lo, s0
	v_lshlrev_b32_e32 v41, 2, v6
	global_wb scope:SCOPE_SE
	s_wait_dscnt 0x0
	s_barrier_signal -1
	s_barrier_wait -1
	global_inv scope:SCOPE_SE
	v_add_nc_u32_e32 v7, 0, v41
	v_add3_u32 v58, 0, v0, v41
	v_cmp_gt_u32_e64 s0, 17, v6
                                        ; implicit-def: $vgpr61
                                        ; implicit-def: $vgpr62
	s_delay_alu instid0(VALU_DEP_3)
	v_add_nc_u32_e32 v57, v7, v0
	ds_load_b32 v59, v58
	v_add_nc_u32_e32 v43, 0x400, v57
	v_add_nc_u32_e32 v44, 0x600, v57
	;; [unrolled: 1-line block ×5, first 2 shown]
	ds_load_2addr_b32 v[41:42], v57 offset0:85 offset1:170
	v_add_nc_u32_e32 v60, 0x1000, v57
	ds_load_2addr_b32 v[53:54], v43 offset0:16 offset1:101
	ds_load_2addr_b32 v[47:48], v44 offset0:58 offset1:160
	;; [unrolled: 1-line block ×6, first 2 shown]
                                        ; implicit-def: $vgpr60
	s_and_saveexec_b32 s4, s0
	s_cbranch_execz .LBB0_16
; %bb.15:
	ds_load_b32 v55, v57 offset:1020
	ds_load_b32 v56, v57 offset:2108
	;; [unrolled: 1-line block ×5, first 2 shown]
.LBB0_16:
	s_wait_alu 0xfffe
	s_or_b32 exec_lo, exec_lo, s4
	v_dual_sub_f32 v81, v39, v9 :: v_dual_add_f32 v76, v40, v10
	v_dual_sub_f32 v73, v37, v13 :: v_dual_add_f32 v72, v38, v14
	v_sub_f32_e32 v37, v31, v17
	s_delay_alu instid0(VALU_DEP_3) | instskip(SKIP_1) | instid1(VALU_DEP_4)
	v_dual_mul_f32 v79, 0xbeb8f4ab, v81 :: v_dual_add_f32 v68, v36, v12
	v_dual_mul_f32 v80, 0xbf2c7751, v81 :: v_dual_sub_f32 v69, v35, v11
	v_dual_mul_f32 v78, 0xbf2c7751, v73 :: v_dual_sub_f32 v65, v33, v15
	v_dual_mul_f32 v77, 0xbf7ee86f, v73 :: v_dual_add_f32 v64, v34, v16
	s_delay_alu instid0(VALU_DEP_4) | instskip(NEXT) | instid1(VALU_DEP_4)
	v_fma_f32 v9, 0x3f6eb680, v76, -v79
	v_fma_f32 v13, 0x3f3d2fb0, v76, -v80
	s_delay_alu instid0(VALU_DEP_4) | instskip(NEXT) | instid1(VALU_DEP_4)
	v_fma_f32 v11, 0x3f3d2fb0, v72, -v78
	v_fma_f32 v35, 0x3dbcf732, v72, -v77
	v_mul_f32_e32 v75, 0xbf65296c, v69
	v_add_f32_e32 v9, v8, v9
	v_add_f32_e32 v13, v8, v13
	v_mul_f32_e32 v74, 0xbf4c4adb, v69
	v_mul_f32_e32 v71, 0xbf7ee86f, v65
	s_delay_alu instid0(VALU_DEP_4) | instskip(NEXT) | instid1(VALU_DEP_4)
	v_dual_mul_f32 v70, 0xbe3c28d5, v65 :: v_dual_add_f32 v9, v9, v11
	v_add_f32_e32 v11, v13, v35
	v_fma_f32 v13, 0x3ee437d1, v68, -v75
	v_fma_f32 v15, 0xbf1a4643, v68, -v74
	v_add_f32_e32 v35, v32, v18
	v_mul_f32_e32 v67, 0xbf763a35, v37
	v_mul_f32_e32 v66, 0x3f06c442, v37
	v_add_f32_e32 v9, v13, v9
	v_add_f32_e32 v11, v15, v11
	v_fma_f32 v13, 0x3dbcf732, v64, -v71
	v_fma_f32 v15, 0xbf7ba420, v64, -v70
	v_sub_f32_e32 v31, v29, v19
	v_fma_f32 v17, 0xbf59a7d5, v35, -v66
	v_add_f32_e32 v29, v30, v20
	v_add_f32_e32 v9, v13, v9
	;; [unrolled: 1-line block ×3, first 2 shown]
	v_fma_f32 v13, 0xbe8c1d8e, v35, -v67
	v_mul_f32_e32 v63, 0xbf4c4adb, v31
	v_mul_f32_e32 v39, 0x3f763a35, v31
	v_sub_f32_e32 v15, v27, v21
	v_add_f32_e32 v17, v17, v11
	v_add_f32_e32 v9, v13, v9
	v_fma_f32 v11, 0xbf1a4643, v29, -v63
	v_fma_f32 v19, 0xbe8c1d8e, v29, -v39
	v_add_f32_e32 v13, v28, v22
	v_mul_f32_e32 v33, 0xbf06c442, v15
	v_mul_f32_e32 v27, 0x3f65296c, v15
	v_add_f32_e32 v21, v11, v9
	v_sub_f32_e32 v11, v25, v23
	v_add_f32_e32 v23, v19, v17
	v_fma_f32 v25, 0xbf59a7d5, v13, -v33
	v_fma_f32 v82, 0x3ee437d1, v13, -v27
	v_add_f32_e32 v9, v26, v24
	v_mul_f32_e32 v17, 0xbe3c28d5, v11
	v_mul_f32_e32 v19, 0x3eb8f4ab, v11
	v_add_f32_e32 v21, v25, v21
	v_add_f32_e32 v23, v82, v23
	global_wb scope:SCOPE_SE
	s_wait_dscnt 0x0
	v_fma_f32 v25, 0xbf7ba420, v9, -v17
	v_fma_f32 v82, 0x3f6eb680, v9, -v19
	s_barrier_signal -1
	s_barrier_wait -1
	global_inv scope:SCOPE_SE
	v_add_f32_e32 v21, v25, v21
	v_add_f32_e32 v23, v82, v23
	s_and_saveexec_b32 s4, s1
	s_cbranch_execz .LBB0_18
; %bb.17:
	v_add_f32_e32 v25, v8, v40
	v_mul_f32_e32 v40, 0x3f6eb680, v76
	v_mul_f32_e32 v98, 0xbe3c28d5, v73
	v_dual_mul_f32 v87, 0xbf7ba420, v64 :: v_dual_mul_f32 v92, 0xbf7ba420, v9
	s_delay_alu instid0(VALU_DEP_4) | instskip(NEXT) | instid1(VALU_DEP_4)
	v_add_f32_e32 v25, v25, v38
	v_dual_mul_f32 v83, 0x3f3d2fb0, v72 :: v_dual_add_f32 v40, v40, v79
	v_dual_mul_f32 v38, 0x3ee437d1, v68 :: v_dual_mul_f32 v91, 0x3ee437d1, v13
	s_delay_alu instid0(VALU_DEP_3) | instskip(SKIP_1) | instid1(VALU_DEP_4)
	v_dual_add_f32 v25, v25, v36 :: v_dual_mul_f32 v88, 0xbf59a7d5, v35
	v_mul_f32_e32 v82, 0x3f3d2fb0, v76
	v_dual_mul_f32 v93, 0x3f6eb680, v9 :: v_dual_add_f32 v78, v83, v78
	s_delay_alu instid0(VALU_DEP_3) | instskip(SKIP_1) | instid1(VALU_DEP_4)
	v_dual_add_f32 v25, v25, v34 :: v_dual_mul_f32 v90, 0xbe8c1d8e, v29
	v_dual_add_f32 v17, v92, v17 :: v_dual_mul_f32 v36, 0xbe8c1d8e, v35
	v_add_f32_e32 v79, v82, v80
	s_delay_alu instid0(VALU_DEP_3)
	v_add_f32_e32 v25, v25, v32
	v_mul_f32_e32 v84, 0x3dbcf732, v72
	v_mul_f32_e32 v32, 0xbf65296c, v81
	v_add_f32_e32 v36, v36, v67
	v_add_f32_e32 v27, v91, v27
	v_dual_add_f32 v25, v25, v30 :: v_dual_mul_f32 v34, 0xbf59a7d5, v13
	s_delay_alu instid0(VALU_DEP_4) | instskip(SKIP_1) | instid1(VALU_DEP_3)
	v_fmamk_f32 v80, v76, 0x3ee437d1, v32
	v_mul_f32_e32 v94, 0xbf7ee86f, v81
	v_dual_mul_f32 v30, 0xbf06c442, v81 :: v_dual_add_f32 v25, v25, v28
	v_mul_f32_e32 v86, 0x3dbcf732, v64
	v_mul_f32_e32 v28, 0x3f06c442, v73
	s_delay_alu instid0(VALU_DEP_3) | instskip(SKIP_2) | instid1(VALU_DEP_3)
	v_dual_add_f32 v38, v38, v75 :: v_dual_add_f32 v25, v25, v26
	v_mul_f32_e32 v89, 0xbf1a4643, v29
	v_fma_f32 v26, 0x3ee437d1, v76, -v32
	v_add_f32_e32 v24, v25, v24
	s_delay_alu instid0(VALU_DEP_2) | instskip(NEXT) | instid1(VALU_DEP_2)
	v_dual_mul_f32 v85, 0xbf1a4643, v68 :: v_dual_add_f32 v26, v8, v26
	v_dual_add_f32 v22, v24, v22 :: v_dual_mul_f32 v95, 0xbf763a35, v81
	v_fma_f32 v24, 0xbf59a7d5, v76, -v30
	s_delay_alu instid0(VALU_DEP_2) | instskip(NEXT) | instid1(VALU_DEP_3)
	v_dual_add_f32 v20, v22, v20 :: v_dual_mul_f32 v97, 0xbf4c4adb, v73
	v_fma_f32 v25, 0xbe8c1d8e, v76, -v95
	v_add_f32_e32 v22, v84, v77
	s_delay_alu instid0(VALU_DEP_4) | instskip(NEXT) | instid1(VALU_DEP_4)
	v_add_f32_e32 v24, v8, v24
	v_add_f32_e32 v18, v20, v18
	;; [unrolled: 1-line block ×6, first 2 shown]
	v_fmamk_f32 v32, v76, 0x3dbcf732, v94
	v_fma_f32 v82, 0x3dbcf732, v76, -v94
	v_add_f32_e32 v22, v40, v22
	v_fmamk_f32 v40, v72, 0xbf59a7d5, v28
	v_fma_f32 v28, 0xbf59a7d5, v72, -v28
	v_mul_f32_e32 v96, 0xbf4c4adb, v81
	v_fmamk_f32 v94, v76, 0xbe8c1d8e, v95
	v_dual_add_f32 v16, v18, v16 :: v_dual_mul_f32 v81, 0xbe3c28d5, v81
	s_delay_alu instid0(VALU_DEP_4) | instskip(NEXT) | instid1(VALU_DEP_4)
	v_add_f32_e32 v25, v25, v28
	v_fmamk_f32 v95, v76, 0xbf1a4643, v96
	v_fma_f32 v96, 0xbf1a4643, v76, -v96
	s_delay_alu instid0(VALU_DEP_4)
	v_add_f32_e32 v12, v16, v12
	v_add_f32_e32 v18, v8, v32
	;; [unrolled: 1-line block ×6, first 2 shown]
	v_fmamk_f32 v99, v76, 0xbf59a7d5, v30
	v_fmamk_f32 v30, v76, 0xbf7ba420, v81
	v_fma_f32 v76, 0xbf7ba420, v76, -v81
	v_fma_f32 v81, 0xbf1a4643, v72, -v97
	v_fmamk_f32 v77, v72, 0xbf1a4643, v97
	v_add_f32_e32 v82, v8, v96
	v_add_f32_e32 v14, v8, v30
	;; [unrolled: 1-line block ×5, first 2 shown]
	v_fma_f32 v30, 0xbf7ba420, v72, -v98
	v_mul_f32_e32 v76, 0x3f763a35, v73
	v_dual_add_f32 v26, v26, v81 :: v_dual_fmamk_f32 v83, v72, 0xbf7ba420, v98
	v_add_f32_e32 v12, v79, v77
	s_delay_alu instid0(VALU_DEP_4)
	v_add_f32_e32 v30, v32, v30
	v_add_f32_e32 v32, v80, v40
	v_mul_f32_e32 v40, 0x3f65296c, v73
	v_fma_f32 v28, 0xbe8c1d8e, v72, -v76
	v_fmamk_f32 v77, v72, 0xbe8c1d8e, v76
	v_dual_mul_f32 v73, 0x3eb8f4ab, v73 :: v_dual_add_f32 v20, v20, v78
	s_delay_alu instid0(VALU_DEP_4) | instskip(SKIP_1) | instid1(VALU_DEP_4)
	v_fmamk_f32 v76, v72, 0x3ee437d1, v40
	v_fma_f32 v40, 0x3ee437d1, v72, -v40
	v_add_f32_e32 v16, v16, v77
	s_delay_alu instid0(VALU_DEP_4) | instskip(SKIP_1) | instid1(VALU_DEP_4)
	v_fmamk_f32 v77, v72, 0x3f6eb680, v73
	v_fma_f32 v72, 0x3f6eb680, v72, -v73
	v_add_f32_e32 v24, v24, v40
	v_mul_f32_e32 v40, 0x3e3c28d5, v69
	s_delay_alu instid0(VALU_DEP_4) | instskip(NEXT) | instid1(VALU_DEP_4)
	v_add_f32_e32 v14, v14, v77
	v_add_f32_e32 v8, v8, v72
	s_delay_alu instid0(VALU_DEP_3) | instskip(SKIP_1) | instid1(VALU_DEP_2)
	v_dual_add_f32 v72, v85, v74 :: v_dual_fmamk_f32 v73, v68, 0xbf7ba420, v40
	v_fma_f32 v40, 0xbf7ba420, v68, -v40
	v_add_f32_e32 v22, v72, v22
	v_mul_f32_e32 v72, 0x3f2c7751, v69
	s_delay_alu instid0(VALU_DEP_4) | instskip(NEXT) | instid1(VALU_DEP_4)
	v_add_f32_e32 v12, v73, v12
	v_dual_add_f32 v26, v40, v26 :: v_dual_mul_f32 v73, 0xbeb8f4ab, v69
	s_delay_alu instid0(VALU_DEP_3) | instskip(SKIP_3) | instid1(VALU_DEP_4)
	v_fmamk_f32 v40, v68, 0x3f3d2fb0, v72
	v_fma_f32 v72, 0x3f3d2fb0, v68, -v72
	v_add_f32_e32 v20, v38, v20
	v_mul_f32_e32 v38, 0x3f763a35, v69
	v_add_f32_e32 v32, v40, v32
	v_fmamk_f32 v40, v68, 0x3f6eb680, v73
	v_add_f32_e32 v25, v72, v25
	s_delay_alu instid0(VALU_DEP_4) | instskip(SKIP_3) | instid1(VALU_DEP_3)
	v_fmamk_f32 v74, v68, 0xbe8c1d8e, v38
	v_fma_f32 v38, 0xbe8c1d8e, v68, -v38
	v_fma_f32 v72, 0x3f6eb680, v68, -v73
	v_add_f32_e32 v16, v40, v16
	v_add_f32_e32 v30, v38, v30
	v_mul_f32_e32 v38, 0xbf7ee86f, v69
	v_dual_mul_f32 v69, 0xbf06c442, v69 :: v_dual_add_f32 v18, v18, v83
	s_delay_alu instid0(VALU_DEP_2) | instskip(SKIP_1) | instid1(VALU_DEP_3)
	v_fmamk_f32 v73, v68, 0x3dbcf732, v38
	v_fma_f32 v38, 0x3dbcf732, v68, -v38
	v_fmamk_f32 v40, v68, 0xbf59a7d5, v69
	v_fma_f32 v68, 0xbf59a7d5, v68, -v69
	s_delay_alu instid0(VALU_DEP_2) | instskip(SKIP_1) | instid1(VALU_DEP_3)
	v_add_f32_e32 v14, v40, v14
	v_mul_f32_e32 v40, 0x3f763a35, v65
	v_add_f32_e32 v8, v68, v8
	s_delay_alu instid0(VALU_DEP_2) | instskip(SKIP_1) | instid1(VALU_DEP_2)
	v_dual_add_f32 v68, v87, v70 :: v_dual_fmamk_f32 v69, v64, 0xbe8c1d8e, v40
	v_fma_f32 v40, 0xbe8c1d8e, v64, -v40
	v_add_f32_e32 v22, v68, v22
	v_mul_f32_e32 v68, 0xbf65296c, v65
	s_delay_alu instid0(VALU_DEP_4) | instskip(NEXT) | instid1(VALU_DEP_4)
	v_add_f32_e32 v12, v69, v12
	v_dual_add_f32 v26, v40, v26 :: v_dual_mul_f32 v69, 0xbf06c442, v65
	s_delay_alu instid0(VALU_DEP_3) | instskip(SKIP_2) | instid1(VALU_DEP_3)
	v_fmamk_f32 v40, v64, 0x3ee437d1, v68
	v_fma_f32 v68, 0x3ee437d1, v64, -v68
	v_add_f32_e32 v18, v74, v18
	v_add_f32_e32 v32, v40, v32
	s_delay_alu instid0(VALU_DEP_3) | instskip(SKIP_3) | instid1(VALU_DEP_3)
	v_dual_add_f32 v25, v68, v25 :: v_dual_add_f32 v24, v38, v24
	v_add_f32_e32 v38, v86, v71
	v_fmamk_f32 v40, v64, 0xbf59a7d5, v69
	v_fma_f32 v68, 0xbf59a7d5, v64, -v69
	v_add_f32_e32 v20, v38, v20
	v_mul_f32_e32 v38, 0x3eb8f4ab, v65
	s_delay_alu instid0(VALU_DEP_4) | instskip(NEXT) | instid1(VALU_DEP_3)
	v_add_f32_e32 v16, v40, v16
	v_add_f32_e32 v20, v36, v20
	s_delay_alu instid0(VALU_DEP_3) | instskip(SKIP_2) | instid1(VALU_DEP_3)
	v_fmamk_f32 v70, v64, 0x3f6eb680, v38
	v_fma_f32 v38, 0x3f6eb680, v64, -v38
	v_mul_f32_e32 v36, 0xbf65296c, v37
	v_add_f32_e32 v18, v70, v18
	s_delay_alu instid0(VALU_DEP_3) | instskip(SKIP_2) | instid1(VALU_DEP_2)
	v_add_f32_e32 v30, v38, v30
	v_mul_f32_e32 v38, 0x3f4c4adb, v65
	v_mul_f32_e32 v65, 0x3f2c7751, v65
	v_fmamk_f32 v69, v64, 0xbf1a4643, v38
	v_fma_f32 v38, 0xbf1a4643, v64, -v38
	s_delay_alu instid0(VALU_DEP_3)
	v_fmamk_f32 v40, v64, 0x3f3d2fb0, v65
	v_fma_f32 v64, 0x3f3d2fb0, v64, -v65
	v_fmamk_f32 v65, v35, 0x3ee437d1, v36
	v_fma_f32 v36, 0x3ee437d1, v35, -v36
	v_add_f32_e32 v24, v38, v24
	v_add_f32_e32 v14, v40, v14
	v_mul_f32_e32 v38, 0x3f2c7751, v37
	v_add_f32_e32 v40, v88, v66
	v_add_f32_e32 v8, v64, v8
	;; [unrolled: 1-line block ×3, first 2 shown]
	v_mul_f32_e32 v36, 0xbeb8f4ab, v37
	v_fmamk_f32 v64, v35, 0x3f3d2fb0, v38
	v_fma_f32 v38, 0x3f3d2fb0, v35, -v38
	v_add_f32_e32 v22, v40, v22
	v_mul_f32_e32 v40, 0xbe3c28d5, v37
	v_add_f32_e32 v18, v65, v18
	v_add_f32_e32 v12, v64, v12
	;; [unrolled: 1-line block ×3, first 2 shown]
	v_mul_f32_e32 v64, 0x3f7ee86f, v37
	v_fmamk_f32 v38, v35, 0xbf7ba420, v40
	v_fma_f32 v40, 0xbf7ba420, v35, -v40
	s_delay_alu instid0(VALU_DEP_2) | instskip(NEXT) | instid1(VALU_DEP_2)
	v_dual_mul_f32 v37, 0xbf4c4adb, v37 :: v_dual_add_f32 v32, v38, v32
	v_dual_add_f32 v25, v40, v25 :: v_dual_fmamk_f32 v38, v35, 0x3dbcf732, v64
	v_fma_f32 v40, 0x3dbcf732, v35, -v64
	v_fmamk_f32 v64, v35, 0x3f6eb680, v36
	v_fma_f32 v36, 0x3f6eb680, v35, -v36
	s_delay_alu instid0(VALU_DEP_4) | instskip(SKIP_2) | instid1(VALU_DEP_4)
	v_add_f32_e32 v16, v38, v16
	v_fmamk_f32 v38, v35, 0xbf1a4643, v37
	v_fma_f32 v35, 0xbf1a4643, v35, -v37
	v_add_f32_e32 v24, v36, v24
	v_add_f32_e32 v36, v89, v63
	s_delay_alu instid0(VALU_DEP_4) | instskip(NEXT) | instid1(VALU_DEP_4)
	v_dual_mul_f32 v37, 0xbeb8f4ab, v31 :: v_dual_add_f32 v14, v38, v14
	v_dual_add_f32 v8, v35, v8 :: v_dual_add_f32 v35, v90, v39
	s_delay_alu instid0(VALU_DEP_3) | instskip(SKIP_1) | instid1(VALU_DEP_4)
	v_add_f32_e32 v20, v36, v20
	v_mul_f32_e32 v36, 0xbf06c442, v31
	v_fmamk_f32 v38, v29, 0x3f6eb680, v37
	v_fma_f32 v37, 0x3f6eb680, v29, -v37
	v_dual_add_f32 v22, v35, v22 :: v_dual_mul_f32 v35, 0x3f7ee86f, v31
	s_delay_alu instid0(VALU_DEP_3) | instskip(NEXT) | instid1(VALU_DEP_3)
	v_dual_fmamk_f32 v39, v29, 0xbf59a7d5, v36 :: v_dual_add_f32 v12, v38, v12
	v_add_f32_e32 v26, v37, v26
	v_fma_f32 v36, 0xbf59a7d5, v29, -v36
	s_delay_alu instid0(VALU_DEP_4)
	v_fmamk_f32 v37, v29, 0x3dbcf732, v35
	v_mul_f32_e32 v38, 0xbf2c7751, v31
	v_fma_f32 v35, 0x3dbcf732, v29, -v35
	v_add_f32_e32 v18, v39, v18
	v_add_f32_e32 v30, v36, v30
	;; [unrolled: 1-line block ×3, first 2 shown]
	v_mul_f32_e32 v36, 0xbe3c28d5, v31
	v_fmamk_f32 v37, v29, 0x3f3d2fb0, v38
	v_mul_f32_e32 v31, 0x3f65296c, v31
	v_add_f32_e32 v25, v35, v25
	v_fma_f32 v35, 0x3f3d2fb0, v29, -v38
	v_fmamk_f32 v38, v29, 0xbf7ba420, v36
	v_add_f32_e32 v16, v37, v16
	v_fma_f32 v36, 0xbf7ba420, v29, -v36
	v_fmamk_f32 v37, v29, 0x3ee437d1, v31
	v_fma_f32 v29, 0x3ee437d1, v29, -v31
	v_add_f32_e32 v31, v34, v33
	v_dual_mul_f32 v33, 0xbf7ee86f, v15 :: v_dual_add_f32 v22, v27, v22
	v_mul_f32_e32 v34, 0xbeb8f4ab, v15
	s_delay_alu instid0(VALU_DEP_4) | instskip(NEXT) | instid1(VALU_DEP_3)
	v_dual_add_f32 v8, v29, v8 :: v_dual_mul_f32 v29, 0x3f4c4adb, v15
	v_dual_add_f32 v20, v31, v20 :: v_dual_fmamk_f32 v31, v13, 0x3dbcf732, v33
	v_fma_f32 v33, 0x3dbcf732, v13, -v33
	s_delay_alu instid0(VALU_DEP_3) | instskip(SKIP_1) | instid1(VALU_DEP_4)
	v_dual_add_f32 v24, v36, v24 :: v_dual_fmamk_f32 v27, v13, 0xbf1a4643, v29
	v_fma_f32 v29, 0xbf1a4643, v13, -v29
	v_add_f32_e32 v12, v31, v12
	s_delay_alu instid0(VALU_DEP_4) | instskip(NEXT) | instid1(VALU_DEP_4)
	v_dual_add_f32 v26, v33, v26 :: v_dual_mul_f32 v31, 0xbe3c28d5, v15
	v_dual_add_f32 v18, v27, v18 :: v_dual_fmamk_f32 v27, v13, 0x3f6eb680, v34
	v_fma_f32 v33, 0x3f6eb680, v13, -v34
	v_dual_add_f32 v29, v29, v30 :: v_dual_mul_f32 v30, 0x3f2c7751, v15
	v_mul_f32_e32 v15, 0xbf763a35, v15
	s_delay_alu instid0(VALU_DEP_4) | instskip(NEXT) | instid1(VALU_DEP_4)
	v_dual_add_f32 v27, v27, v32 :: v_dual_fmamk_f32 v32, v13, 0xbf7ba420, v31
	v_dual_add_f32 v25, v33, v25 :: v_dual_add_f32 v76, v84, v76
	s_delay_alu instid0(VALU_DEP_4)
	v_fmamk_f32 v33, v13, 0x3f3d2fb0, v30
	v_fma_f32 v30, 0x3f3d2fb0, v13, -v30
	v_fma_f32 v31, 0xbf7ba420, v13, -v31
	v_add_f32_e32 v16, v32, v16
	v_fmamk_f32 v32, v13, 0xbe8c1d8e, v15
	v_fma_f32 v13, 0xbe8c1d8e, v13, -v15
	v_dual_add_f32 v15, v30, v24 :: v_dual_mul_f32 v24, 0xbf06c442, v11
	v_add_f32_e32 v28, v82, v28
	v_add_f32_e32 v14, v37, v14
	s_delay_alu instid0(VALU_DEP_4) | instskip(SKIP_4) | instid1(VALU_DEP_3)
	v_add_f32_e32 v8, v13, v8
	v_add_f32_e32 v13, v93, v19
	v_fmamk_f32 v19, v9, 0xbf59a7d5, v24
	v_dual_add_f32 v17, v17, v20 :: v_dual_mul_f32 v20, 0x3f2c7751, v11
	v_fma_f32 v24, 0xbf59a7d5, v9, -v24
	v_dual_add_f32 v13, v13, v22 :: v_dual_add_f32 v12, v19, v12
	v_mul_f32_e32 v19, 0xbf4c4adb, v11
	s_delay_alu instid0(VALU_DEP_4) | instskip(NEXT) | instid1(VALU_DEP_4)
	v_fmamk_f32 v22, v9, 0x3f3d2fb0, v20
	v_add_f32_e32 v24, v24, v26
	v_fma_f32 v20, 0x3f3d2fb0, v9, -v20
	v_mul_f32_e32 v26, 0x3f65296c, v11
	v_fmamk_f32 v30, v9, 0xbf1a4643, v19
	v_fma_f32 v19, 0xbf1a4643, v9, -v19
	v_add_f32_e32 v18, v22, v18
	v_add_f32_e32 v20, v20, v29
	v_fmamk_f32 v22, v9, 0x3ee437d1, v26
	v_fma_f32 v26, 0x3ee437d1, v9, -v26
	v_add_f32_e32 v19, v19, v25
	v_mul_f32_e32 v25, 0xbf763a35, v11
	v_dual_mul_f32 v11, 0x3f7ee86f, v11 :: v_dual_add_f32 v28, v72, v28
	v_add_f32_e32 v72, v73, v76
	v_add_f32_e32 v16, v22, v16
	s_delay_alu instid0(VALU_DEP_3) | instskip(NEXT) | instid1(VALU_DEP_4)
	v_dual_add_f32 v14, v32, v14 :: v_dual_fmamk_f32 v29, v9, 0x3dbcf732, v11
	v_add_f32_e32 v28, v68, v28
	s_delay_alu instid0(VALU_DEP_4) | instskip(NEXT) | instid1(VALU_DEP_3)
	v_dual_add_f32 v68, v69, v72 :: v_dual_add_f32 v27, v30, v27
	v_add_f32_e32 v14, v29, v14
	s_delay_alu instid0(VALU_DEP_3) | instskip(NEXT) | instid1(VALU_DEP_3)
	v_add_f32_e32 v28, v40, v28
	v_add_f32_e32 v40, v64, v68
	s_delay_alu instid0(VALU_DEP_2) | instskip(NEXT) | instid1(VALU_DEP_2)
	v_add_f32_e32 v28, v35, v28
	v_add_f32_e32 v35, v38, v40
	s_delay_alu instid0(VALU_DEP_1) | instskip(NEXT) | instid1(VALU_DEP_1)
	v_dual_add_f32 v28, v31, v28 :: v_dual_add_f32 v31, v33, v35
	v_add_f32_e32 v22, v26, v28
	v_lshlrev_b32_e32 v26, 6, v6
	v_fmamk_f32 v28, v9, 0xbe8c1d8e, v25
	v_fma_f32 v25, 0xbe8c1d8e, v9, -v25
	v_fma_f32 v9, 0x3dbcf732, v9, -v11
	s_delay_alu instid0(VALU_DEP_4) | instskip(NEXT) | instid1(VALU_DEP_4)
	v_add3_u32 v7, v7, v26, v0
	v_add_f32_e32 v11, v28, v31
	s_delay_alu instid0(VALU_DEP_4) | instskip(NEXT) | instid1(VALU_DEP_4)
	v_add_f32_e32 v15, v25, v15
	v_add_f32_e32 v8, v9, v8
	ds_store_2addr_b32 v7, v10, v17 offset1:1
	ds_store_2addr_b32 v7, v13, v12 offset0:2 offset1:3
	ds_store_2addr_b32 v7, v18, v27 offset0:4 offset1:5
	ds_store_2addr_b32 v7, v16, v11 offset0:6 offset1:7
	ds_store_2addr_b32 v7, v14, v8 offset0:8 offset1:9
	ds_store_2addr_b32 v7, v15, v22 offset0:10 offset1:11
	ds_store_2addr_b32 v7, v19, v20 offset0:12 offset1:13
	ds_store_2addr_b32 v7, v24, v23 offset0:14 offset1:15
	ds_store_b32 v7, v21 offset:64
.LBB0_18:
	s_wait_alu 0xfffe
	s_or_b32 exec_lo, exec_lo, s4
	v_add_nc_u32_e32 v7, 0x400, v57
	global_wb scope:SCOPE_SE
	s_wait_dscnt 0x0
	s_barrier_signal -1
	s_barrier_wait -1
	global_inv scope:SCOPE_SE
	v_add_nc_u32_e32 v8, 0x600, v57
	ds_load_b32 v24, v58
	ds_load_2addr_b32 v[11:12], v7 offset0:16 offset1:101
	v_add_nc_u32_e32 v7, 0xc00, v57
	v_add_nc_u32_e32 v13, 0xe00, v57
	v_add_nc_u32_e32 v15, 0x800, v57
	v_add_nc_u32_e32 v16, 0x1000, v57
	ds_load_2addr_b32 v[9:10], v8 offset0:58 offset1:160
	ds_load_2addr_b32 v[19:20], v7 offset0:48 offset1:133
	;; [unrolled: 1-line block ×6, first 2 shown]
                                        ; implicit-def: $vgpr22
                                        ; implicit-def: $vgpr26
                                        ; implicit-def: $vgpr35
	s_and_saveexec_b32 s1, s0
	s_cbranch_execz .LBB0_20
; %bb.19:
	ds_load_b32 v23, v57 offset:1020
	ds_load_b32 v21, v57 offset:2108
	;; [unrolled: 1-line block ×5, first 2 shown]
.LBB0_20:
	s_wait_alu 0xfffe
	s_or_b32 exec_lo, exec_lo, s1
	v_and_b32_e32 v25, 0xff, v6
	v_add_nc_u16 v31, v6, 0x55
	v_add_nc_u16 v32, v6, 0xaa
	s_delay_alu instid0(VALU_DEP_3) | instskip(NEXT) | instid1(VALU_DEP_3)
	v_mul_lo_u16 v25, 0xf1, v25
	v_and_b32_e32 v28, 0xff, v31
	s_delay_alu instid0(VALU_DEP_3) | instskip(NEXT) | instid1(VALU_DEP_3)
	v_and_b32_e32 v29, 0xff, v32
	v_lshrrev_b16 v25, 12, v25
	s_delay_alu instid0(VALU_DEP_3) | instskip(NEXT) | instid1(VALU_DEP_2)
	v_mul_lo_u16 v28, 0xf1, v28
	v_mul_lo_u16 v27, v25, 17
	s_delay_alu instid0(VALU_DEP_2) | instskip(NEXT) | instid1(VALU_DEP_2)
	v_lshrrev_b16 v34, 12, v28
	v_sub_nc_u16 v27, v6, v27
	s_delay_alu instid0(VALU_DEP_2) | instskip(NEXT) | instid1(VALU_DEP_2)
	v_mul_lo_u16 v37, v34, 17
	v_and_b32_e32 v33, 0xff, v27
	v_mul_lo_u16 v27, 0xf1, v29
	s_delay_alu instid0(VALU_DEP_3) | instskip(NEXT) | instid1(VALU_DEP_3)
	v_sub_nc_u16 v31, v31, v37
	v_lshlrev_b32_e32 v36, 5, v33
	s_delay_alu instid0(VALU_DEP_3) | instskip(SKIP_3) | instid1(VALU_DEP_2)
	v_lshrrev_b16 v63, 12, v27
	global_load_b128 v[27:30], v36, s[8:9]
	v_add_nc_u32_e32 v40, 0xff, v6
	v_mul_lo_u16 v65, v63, 17
	v_and_b32_e32 v38, 0xffff, v40
	s_delay_alu instid0(VALU_DEP_2) | instskip(NEXT) | instid1(VALU_DEP_2)
	v_sub_nc_u16 v32, v32, v65
	v_mul_u32_u24_e32 v64, 0xf0f1, v38
	s_delay_alu instid0(VALU_DEP_2) | instskip(NEXT) | instid1(VALU_DEP_2)
	v_and_b32_e32 v32, 0xff, v32
	v_lshrrev_b32_e32 v64, 20, v64
	s_delay_alu instid0(VALU_DEP_1) | instskip(NEXT) | instid1(VALU_DEP_1)
	v_mul_lo_u16 v64, v64, 17
	v_sub_nc_u16 v40, v40, v64
	s_delay_alu instid0(VALU_DEP_4)
	v_lshlrev_b32_e32 v64, 5, v32
	s_clause 0x1
	global_load_b128 v[78:81], v64, s[8:9]
	global_load_b128 v[36:39], v36, s[8:9] offset:16
	v_and_b32_e32 v31, 0xff, v31
	v_lshlrev_b32_e32 v32, 2, v32
	s_wait_loadcnt 0x2
	s_delay_alu instid0(VALU_DEP_2) | instskip(SKIP_1) | instid1(VALU_DEP_1)
	v_dual_mul_f32 v66, v48, v30 :: v_dual_lshlrev_b32 v65, 5, v31
	s_wait_dscnt 0x5
	v_fmac_f32_e32 v66, v10, v29
	global_load_b128 v[74:77], v65, s[8:9] offset:16
	v_and_b32_e32 v40, 0xffff, v40
	global_load_b128 v[70:73], v65, s[8:9]
	v_and_b32_e32 v63, 0xffff, v63
	v_and_b32_e32 v25, 0xffff, v25
	v_lshlrev_b32_e32 v33, 2, v33
	v_lshlrev_b32_e32 v65, 5, v40
	s_clause 0x2
	global_load_b128 v[82:85], v64, s[8:9] offset:16
	global_load_b128 v[86:89], v65, s[8:9]
	global_load_b128 v[90:93], v65, s[8:9] offset:16
	v_mad_u32_u24 v63, 0x154, v63, 0
	v_mad_u32_u24 v25, 0x154, v25, 0
	v_dual_mul_f32 v65, v53, v28 :: v_dual_lshlrev_b32 v64, 2, v31
	global_wb scope:SCOPE_SE
	s_wait_loadcnt_dscnt 0x0
	v_add3_u32 v32, v63, v32, v0
	v_add3_u32 v31, v25, v33, v0
	s_barrier_signal -1
	v_fmac_f32_e32 v65, v11, v27
	s_barrier_wait -1
	global_inv scope:SCOPE_SE
	v_dual_mul_f32 v63, v51, v37 :: v_dual_and_b32 v34, 0xffff, v34
	s_delay_alu instid0(VALU_DEP_1) | instskip(NEXT) | instid1(VALU_DEP_2)
	v_fmac_f32_e32 v63, v19, v36
	v_mad_u32_u24 v34, 0x154, v34, 0
	s_delay_alu instid0(VALU_DEP_1) | instskip(SKIP_4) | instid1(VALU_DEP_4)
	v_add3_u32 v33, v34, v64, v0
	v_mul_f32_e32 v34, v11, v28
	v_mul_f32_e32 v28, v10, v30
	v_dual_mul_f32 v30, v19, v37 :: v_dual_mul_f32 v37, v14, v39
	v_mul_f32_e32 v64, v44, v39
	v_fma_f32 v53, v53, v27, -v34
	s_delay_alu instid0(VALU_DEP_4) | instskip(NEXT) | instid1(VALU_DEP_4)
	v_fma_f32 v67, v48, v29, -v28
	v_fma_f32 v68, v51, v36, -v30
	;; [unrolled: 1-line block ×3, first 2 shown]
	v_fmac_f32_e32 v64, v14, v38
	v_dual_mul_f32 v10, v47, v79 :: v_dual_mul_f32 v11, v50, v81
	s_delay_alu instid0(VALU_DEP_1)
	v_dual_fmac_f32 v11, v18, v80 :: v_dual_mul_f32 v38, v20, v75
	v_mul_f32_e32 v44, v45, v77
	v_mul_f32_e32 v34, v12, v71
	;; [unrolled: 1-line block ×4, first 2 shown]
	v_dual_mul_f32 v40, v52, v75 :: v_dual_lshlrev_b32 v25, 2, v40
	v_mul_f32_e32 v36, v17, v73
	v_dual_mul_f32 v14, v43, v83 :: v_dual_mul_f32 v37, v46, v85
	v_mul_f32_e32 v39, v49, v73
	v_mul_f32_e32 v73, v9, v79
	v_dual_mul_f32 v77, v13, v83 :: v_dual_mul_f32 v30, v60, v93
	v_mul_f32_e32 v79, v16, v85
	v_mul_f32_e32 v27, v56, v87
	v_dual_mul_f32 v83, v35, v89 :: v_dual_mul_f32 v28, v61, v91
	v_dual_mul_f32 v29, v62, v89 :: v_dual_fmac_f32 v44, v15, v76
	v_dual_fmac_f32 v37, v16, v84 :: v_dual_add_f32 v16, v59, v53
	v_mul_f32_e32 v75, v18, v81
	v_dual_mul_f32 v81, v21, v87 :: v_dual_fmac_f32 v40, v20, v74
	v_dual_mul_f32 v85, v26, v91 :: v_dual_fmac_f32 v10, v9, v78
	;; [unrolled: 1-line block ×3, first 2 shown]
	v_fma_f32 v51, v54, v70, -v34
	v_dual_fmac_f32 v19, v12, v70 :: v_dual_fmac_f32 v30, v22, v92
	v_fma_f32 v48, v49, v72, -v36
	v_dual_fmac_f32 v39, v17, v72 :: v_dual_fmac_f32 v28, v26, v90
	v_fma_f32 v17, v52, v74, -v38
	v_fma_f32 v20, v45, v76, -v71
	;; [unrolled: 1-line block ×5, first 2 shown]
	v_dual_fmac_f32 v27, v21, v86 :: v_dual_add_f32 v18, v67, v68
	v_dual_fmac_f32 v29, v35, v88 :: v_dual_sub_f32 v26, v53, v67
	v_dual_sub_f32 v21, v65, v64 :: v_dual_sub_f32 v46, v67, v53
	v_dual_sub_f32 v43, v69, v68 :: v_dual_add_f32 v16, v16, v67
	v_add_f32_e32 v45, v53, v69
	v_sub_f32_e32 v47, v68, v69
	v_fma_f32 v9, v50, v80, -v75
	v_sub_f32_e32 v50, v51, v48
	v_sub_f32_e32 v22, v66, v63
	v_fma_f32 v18, -0.5, v18, v59
	v_dual_add_f32 v26, v26, v43 :: v_dual_fmac_f32 v59, -0.5, v45
	v_dual_add_f32 v54, v51, v20 :: v_dual_add_f32 v43, v46, v47
	v_dual_add_f32 v46, v48, v17 :: v_dual_add_f32 v45, v41, v51
	v_sub_f32_e32 v52, v20, v17
	v_fma_f32 v36, v56, v86, -v81
	v_fma_f32 v34, v62, v88, -v83
	v_fma_f32 v38, v60, v92, -v87
	v_dual_sub_f32 v47, v19, v44 :: v_dual_sub_f32 v56, v48, v51
	v_dual_sub_f32 v49, v39, v40 :: v_dual_add_f32 v62, v9, v15
	v_dual_sub_f32 v60, v17, v20 :: v_dual_sub_f32 v71, v11, v14
	v_dual_add_f32 v74, v12, v13 :: v_dual_sub_f32 v75, v9, v12
	v_fma_f32 v35, v61, v90, -v85
	v_dual_add_f32 v61, v42, v12 :: v_dual_sub_f32 v72, v12, v9
	v_dual_sub_f32 v76, v15, v13 :: v_dual_fmamk_f32 v77, v21, 0x3f737871, v18
	v_add_f32_e32 v16, v16, v68
	v_dual_fmac_f32 v18, 0xbf737871, v21 :: v_dual_add_f32 v45, v45, v48
	v_fmamk_f32 v78, v22, 0xbf737871, v59
	v_fmac_f32_e32 v59, 0x3f737871, v22
	v_fma_f32 v46, -0.5, v46, v41
	v_dual_sub_f32 v70, v10, v37 :: v_dual_sub_f32 v73, v13, v15
	v_fma_f32 v41, -0.5, v54, v41
	v_dual_add_f32 v50, v50, v52 :: v_dual_fmac_f32 v77, 0x3f167918, v22
	v_dual_add_f32 v52, v56, v60 :: v_dual_fmac_f32 v59, 0xbf167918, v21
	v_fma_f32 v56, -0.5, v62, v42
	v_fmac_f32_e32 v42, -0.5, v74
	s_delay_alu instid0(VALU_DEP_4)
	v_dual_add_f32 v54, v61, v9 :: v_dual_fmac_f32 v77, 0x3e9e377a, v26
	v_dual_add_f32 v61, v75, v76 :: v_dual_fmac_f32 v78, 0x3f167918, v21
	;; [unrolled: 1-line block ×3, first 2 shown]
	v_fmamk_f32 v22, v47, 0x3f737871, v46
	v_dual_add_f32 v60, v72, v73 :: v_dual_fmamk_f32 v45, v49, 0xbf737871, v41
	v_fmac_f32_e32 v46, 0xbf737871, v47
	v_dual_fmac_f32 v41, 0x3f737871, v49 :: v_dual_fmamk_f32 v62, v70, 0x3f737871, v56
	v_fmac_f32_e32 v56, 0xbf737871, v70
	v_fmamk_f32 v72, v71, 0xbf737871, v42
	v_fmac_f32_e32 v42, 0x3f737871, v71
	v_fmac_f32_e32 v22, 0x3f167918, v49
	v_dual_fmac_f32 v46, 0xbf167918, v49 :: v_dual_fmac_f32 v41, 0xbf167918, v47
	v_dual_fmac_f32 v45, 0x3f167918, v47 :: v_dual_add_f32 v16, v16, v69
	v_fmac_f32_e32 v59, 0x3e9e377a, v43
	v_add_f32_e32 v54, v54, v15
	v_fmac_f32_e32 v62, 0x3f167918, v71
	s_delay_alu instid0(VALU_DEP_4)
	v_fmac_f32_e32 v45, 0x3e9e377a, v52
	v_fmac_f32_e32 v56, 0xbf167918, v71
	;; [unrolled: 1-line block ×4, first 2 shown]
	v_dual_fmac_f32 v78, 0x3e9e377a, v43 :: v_dual_add_f32 v21, v21, v20
	v_dual_fmac_f32 v18, 0x3e9e377a, v26 :: v_dual_fmac_f32 v41, 0x3e9e377a, v52
	v_fmac_f32_e32 v22, 0x3e9e377a, v50
	v_add_f32_e32 v26, v54, v13
	v_fmac_f32_e32 v46, 0x3e9e377a, v50
	v_fmac_f32_e32 v62, 0x3e9e377a, v60
	v_fmac_f32_e32 v56, 0x3e9e377a, v60
	v_fmac_f32_e32 v72, 0x3e9e377a, v61
	v_fmac_f32_e32 v42, 0x3e9e377a, v61
	ds_store_2addr_b32 v31, v16, v77 offset1:17
	ds_store_2addr_b32 v31, v78, v59 offset0:34 offset1:51
	ds_store_b32 v31, v18 offset:272
	ds_store_2addr_b32 v33, v21, v22 offset1:17
	ds_store_2addr_b32 v33, v45, v41 offset0:34 offset1:51
	ds_store_b32 v33, v46 offset:272
	;; [unrolled: 3-line block ×3, first 2 shown]
	s_and_saveexec_b32 s1, s0
	s_cbranch_execz .LBB0_22
; %bb.21:
	v_dual_add_f32 v16, v36, v38 :: v_dual_sub_f32 v43, v38, v35
	v_dual_sub_f32 v22, v29, v28 :: v_dual_sub_f32 v41, v27, v30
	v_dual_sub_f32 v18, v34, v36 :: v_dual_sub_f32 v21, v35, v38
	s_delay_alu instid0(VALU_DEP_3) | instskip(SKIP_1) | instid1(VALU_DEP_3)
	v_fma_f32 v16, -0.5, v16, v55
	v_sub_f32_e32 v42, v36, v34
	v_add_f32_e32 v18, v18, v21
	s_delay_alu instid0(VALU_DEP_3) | instskip(NEXT) | instid1(VALU_DEP_1)
	v_fmamk_f32 v45, v22, 0x3f737871, v16
	v_dual_add_f32 v26, v34, v35 :: v_dual_fmac_f32 v45, 0xbf167918, v41
	s_delay_alu instid0(VALU_DEP_1) | instskip(NEXT) | instid1(VALU_DEP_1)
	v_fma_f32 v26, -0.5, v26, v55
	v_dual_add_f32 v46, v55, v36 :: v_dual_fmamk_f32 v21, v41, 0xbf737871, v26
	v_fmac_f32_e32 v26, 0x3f737871, v41
	s_delay_alu instid0(VALU_DEP_2)
	v_dual_fmac_f32 v21, 0xbf167918, v22 :: v_dual_add_f32 v42, v42, v43
	v_fmac_f32_e32 v45, 0x3e9e377a, v18
	v_add3_u32 v43, 0, v25, v0
	v_add_f32_e32 v46, v46, v34
	v_fmac_f32_e32 v16, 0xbf737871, v22
	v_fmac_f32_e32 v26, 0x3f167918, v22
	;; [unrolled: 1-line block ×3, first 2 shown]
	v_add_nc_u32_e32 v22, 0x1200, v43
	s_delay_alu instid0(VALU_DEP_4) | instskip(NEXT) | instid1(VALU_DEP_4)
	v_dual_fmac_f32 v16, 0x3f167918, v41 :: v_dual_add_f32 v41, v46, v35
	v_fmac_f32_e32 v26, 0x3e9e377a, v42
	s_delay_alu instid0(VALU_DEP_2) | instskip(NEXT) | instid1(VALU_DEP_3)
	v_fmac_f32_e32 v16, 0x3e9e377a, v18
	v_dual_add_f32 v18, v41, v38 :: v_dual_add_nc_u32 v41, 0x1400, v43
	ds_store_2addr_b32 v22, v18, v26 offset0:123 offset1:140
	ds_store_2addr_b32 v41, v16, v45 offset0:29 offset1:46
	ds_store_b32 v43, v21 offset:5372
.LBB0_22:
	s_wait_alu 0xfffe
	s_or_b32 exec_lo, exec_lo, s1
	v_dual_add_f32 v16, v66, v63 :: v_dual_sub_f32 v21, v53, v69
	v_dual_sub_f32 v22, v67, v68 :: v_dual_sub_f32 v43, v66, v65
	global_wb scope:SCOPE_SE
	s_wait_dscnt 0x0
	v_fma_f32 v41, -0.5, v16, v24
	v_add_f32_e32 v18, v24, v65
	v_sub_f32_e32 v26, v65, v66
	s_barrier_signal -1
	s_barrier_wait -1
	v_fmamk_f32 v45, v21, 0xbf737871, v41
	v_dual_fmac_f32 v41, 0x3f737871, v21 :: v_dual_sub_f32 v16, v64, v63
	v_add_f32_e32 v42, v65, v64
	global_inv scope:SCOPE_SE
	v_fmac_f32_e32 v45, 0xbf167918, v22
	v_dual_fmac_f32 v41, 0x3f167918, v22 :: v_dual_add_f32 v16, v26, v16
	v_dual_sub_f32 v17, v48, v17 :: v_dual_fmac_f32 v24, -0.5, v42
	v_add_f32_e32 v18, v18, v66
	v_sub_f32_e32 v26, v63, v64
	s_delay_alu instid0(VALU_DEP_4)
	v_fmac_f32_e32 v41, 0x3e9e377a, v16
	v_fmac_f32_e32 v45, 0x3e9e377a, v16
	v_fmamk_f32 v42, v22, 0x3f737871, v24
	v_fmac_f32_e32 v24, 0xbf737871, v22
	v_add_f32_e32 v22, v7, v19
	v_add_f32_e32 v26, v43, v26
	s_delay_alu instid0(VALU_DEP_4) | instskip(NEXT) | instid1(VALU_DEP_4)
	v_fmac_f32_e32 v42, 0xbf167918, v21
	v_fmac_f32_e32 v24, 0x3f167918, v21
	s_delay_alu instid0(VALU_DEP_4) | instskip(SKIP_2) | instid1(VALU_DEP_2)
	v_add_f32_e32 v16, v22, v39
	v_add_f32_e32 v18, v18, v63
	v_dual_sub_f32 v21, v19, v39 :: v_dual_sub_f32 v22, v44, v40
	v_add_f32_e32 v46, v18, v64
	v_add_f32_e32 v18, v39, v40
	s_delay_alu instid0(VALU_DEP_1) | instskip(SKIP_3) | instid1(VALU_DEP_3)
	v_fma_f32 v43, -0.5, v18, v7
	v_sub_f32_e32 v18, v51, v20
	v_add_f32_e32 v20, v19, v44
	v_sub_f32_e32 v19, v39, v19
	v_fmamk_f32 v47, v18, 0xbf737871, v43
	s_delay_alu instid0(VALU_DEP_3) | instskip(SKIP_1) | instid1(VALU_DEP_3)
	v_fma_f32 v48, -0.5, v20, v7
	v_dual_fmac_f32 v43, 0x3f737871, v18 :: v_dual_sub_f32 v20, v40, v44
	v_fmac_f32_e32 v47, 0xbf167918, v17
	s_delay_alu instid0(VALU_DEP_3) | instskip(NEXT) | instid1(VALU_DEP_3)
	v_fmamk_f32 v49, v17, 0x3f737871, v48
	v_fmac_f32_e32 v43, 0x3f167918, v17
	v_dual_fmac_f32 v48, 0xbf737871, v17 :: v_dual_add_f32 v17, v8, v10
	s_delay_alu instid0(VALU_DEP_3) | instskip(SKIP_1) | instid1(VALU_DEP_3)
	v_fmac_f32_e32 v49, 0xbf167918, v18
	v_dual_add_f32 v7, v16, v40 :: v_dual_add_f32 v16, v21, v22
	v_fmac_f32_e32 v48, 0x3f167918, v18
	s_delay_alu instid0(VALU_DEP_2) | instskip(NEXT) | instid1(VALU_DEP_3)
	v_dual_add_f32 v39, v7, v44 :: v_dual_add_nc_u32 v18, 0xc00, v57
	v_dual_fmac_f32 v47, 0x3e9e377a, v16 :: v_dual_fmac_f32 v42, 0x3e9e377a, v26
	v_add_f32_e32 v7, v19, v20
	v_add_f32_e32 v19, v11, v14
	v_dual_fmac_f32 v24, 0x3e9e377a, v26 :: v_dual_fmac_f32 v43, 0x3e9e377a, v16
	v_add_nc_u32_e32 v26, 0x1000, v57
	s_delay_alu instid0(VALU_DEP_4) | instskip(NEXT) | instid1(VALU_DEP_4)
	v_fmac_f32_e32 v49, 0x3e9e377a, v7
	v_fma_f32 v40, -0.5, v19, v8
	v_fmac_f32_e32 v48, 0x3e9e377a, v7
	v_dual_sub_f32 v7, v9, v15 :: v_dual_sub_f32 v44, v12, v13
	v_dual_add_f32 v16, v17, v11 :: v_dual_add_f32 v17, v10, v37
	v_dual_sub_f32 v9, v10, v11 :: v_dual_sub_f32 v12, v37, v14
	s_delay_alu instid0(VALU_DEP_3) | instskip(NEXT) | instid1(VALU_DEP_3)
	v_fmamk_f32 v51, v44, 0xbf737871, v40
	v_add_f32_e32 v50, v16, v14
	s_delay_alu instid0(VALU_DEP_4) | instskip(SKIP_1) | instid1(VALU_DEP_4)
	v_fmac_f32_e32 v8, -0.5, v17
	v_dual_sub_f32 v10, v11, v10 :: v_dual_sub_f32 v11, v14, v37
	v_fmac_f32_e32 v51, 0xbf167918, v7
	v_fmac_f32_e32 v40, 0x3f737871, v44
	s_delay_alu instid0(VALU_DEP_4) | instskip(SKIP_2) | instid1(VALU_DEP_4)
	v_fmamk_f32 v52, v7, 0x3f737871, v8
	v_dual_fmac_f32 v8, 0xbf737871, v7 :: v_dual_add_f32 v53, v9, v12
	v_dual_add_f32 v54, v10, v11 :: v_dual_add_nc_u32 v17, 0xa00, v57
	v_fmac_f32_e32 v40, 0x3f167918, v7
	v_add_nc_u32_e32 v7, 0x200, v57
	ds_load_2addr_b32 v[9:10], v57 offset0:85 offset1:170
	ds_load_2addr_b32 v[15:16], v7 offset0:127 offset1:212
	v_add_nc_u32_e32 v7, 0x400, v57
	v_add_nc_u32_e32 v11, 0x800, v57
	ds_load_2addr_b32 v[13:14], v7 offset0:169 offset1:254
	ds_load_2addr_b32 v[11:12], v11 offset0:83 offset1:168
	;; [unrolled: 1-line block ×5, first 2 shown]
	ds_load_b32 v7, v58
	ds_load_b32 v26, v57 offset:5100
	v_fmac_f32_e32 v52, 0xbf167918, v44
	v_dual_fmac_f32 v8, 0x3f167918, v44 :: v_dual_add_f32 v37, v50, v37
	v_fmac_f32_e32 v51, 0x3e9e377a, v53
	v_fmac_f32_e32 v40, 0x3e9e377a, v53
	s_delay_alu instid0(VALU_DEP_4) | instskip(NEXT) | instid1(VALU_DEP_4)
	v_fmac_f32_e32 v52, 0x3e9e377a, v54
	v_fmac_f32_e32 v8, 0x3e9e377a, v54
	global_wb scope:SCOPE_SE
	s_wait_dscnt 0x0
	s_barrier_signal -1
	s_barrier_wait -1
	global_inv scope:SCOPE_SE
	ds_store_2addr_b32 v31, v46, v45 offset1:17
	ds_store_2addr_b32 v31, v42, v24 offset0:34 offset1:51
	ds_store_b32 v31, v41 offset:272
	ds_store_2addr_b32 v33, v39, v47 offset1:17
	ds_store_2addr_b32 v33, v49, v48 offset0:34 offset1:51
	ds_store_b32 v33, v43 offset:272
	;; [unrolled: 3-line block ×3, first 2 shown]
	s_and_saveexec_b32 s1, s0
	s_cbranch_execz .LBB0_24
; %bb.23:
	v_dual_add_f32 v8, v23, v27 :: v_dual_sub_f32 v31, v36, v38
	v_dual_add_f32 v24, v29, v28 :: v_dual_sub_f32 v33, v34, v35
	;; [unrolled: 1-line block ×3, first 2 shown]
	s_delay_alu instid0(VALU_DEP_3) | instskip(NEXT) | instid1(VALU_DEP_3)
	v_add_f32_e32 v8, v8, v29
	v_fma_f32 v24, -0.5, v24, v23
	v_dual_sub_f32 v34, v27, v29 :: v_dual_sub_f32 v27, v29, v27
	s_delay_alu instid0(VALU_DEP_4) | instskip(NEXT) | instid1(VALU_DEP_4)
	v_fmac_f32_e32 v23, -0.5, v32
	v_add_f32_e32 v8, v8, v28
	s_delay_alu instid0(VALU_DEP_4)
	v_fmamk_f32 v32, v31, 0xbf737871, v24
	v_fmac_f32_e32 v24, 0x3f737871, v31
	v_add3_u32 v0, 0, v25, v0
	v_fmamk_f32 v29, v33, 0x3f737871, v23
	v_dual_fmac_f32 v23, 0xbf737871, v33 :: v_dual_sub_f32 v28, v28, v30
	v_add_f32_e32 v8, v8, v30
	s_delay_alu instid0(VALU_DEP_4) | instskip(NEXT) | instid1(VALU_DEP_3)
	v_dual_add_f32 v30, v34, v35 :: v_dual_add_nc_u32 v25, 0x1200, v0
	v_fmac_f32_e32 v23, 0x3f167918, v31
	s_delay_alu instid0(VALU_DEP_4) | instskip(SKIP_2) | instid1(VALU_DEP_3)
	v_dual_fmac_f32 v32, 0xbf167918, v33 :: v_dual_add_f32 v27, v27, v28
	v_fmac_f32_e32 v29, 0xbf167918, v31
	v_fmac_f32_e32 v24, 0x3f167918, v33
	v_dual_fmac_f32 v32, 0x3e9e377a, v30 :: v_dual_fmac_f32 v23, 0x3e9e377a, v27
	s_delay_alu instid0(VALU_DEP_2)
	v_dual_fmac_f32 v29, 0x3e9e377a, v27 :: v_dual_fmac_f32 v24, 0x3e9e377a, v30
	v_add_nc_u32_e32 v27, 0x1400, v0
	ds_store_2addr_b32 v25, v8, v32 offset0:123 offset1:140
	ds_store_2addr_b32 v27, v29, v23 offset0:29 offset1:46
	ds_store_b32 v0, v24 offset:5372
.LBB0_24:
	s_wait_alu 0xfffe
	s_or_b32 exec_lo, exec_lo, s1
	global_wb scope:SCOPE_SE
	s_wait_dscnt 0x0
	s_barrier_signal -1
	s_barrier_wait -1
	global_inv scope:SCOPE_SE
	s_and_saveexec_b32 s0, vcc_lo
	s_cbranch_execz .LBB0_26
; %bb.25:
	v_mul_u32_u24_e32 v0, 15, v6
	v_mul_lo_u32 v6, s2, v4
	v_add_nc_u32_e32 v25, 0x400, v57
	s_delay_alu instid0(VALU_DEP_3)
	v_lshlrev_b32_e32 v0, 3, v0
	s_clause 0x7
	global_load_b128 v[27:30], v0, s[8:9] offset:544
	global_load_b128 v[31:34], v0, s[8:9] offset:608
	;; [unrolled: 1-line block ×7, first 2 shown]
	global_load_b64 v[23:24], v0, s[8:9] offset:656
	v_mul_lo_u32 v0, s3, v3
	v_mad_co_u64_u32 v[3:4], null, s2, v3, 0
	ds_load_2addr_b32 v[55:56], v57 offset0:85 offset1:170
	v_add_nc_u32_e32 v8, 0xa00, v57
	v_add_nc_u32_e32 v61, 0x1000, v57
	;; [unrolled: 1-line block ×5, first 2 shown]
	v_add3_u32 v4, v4, v6, v0
	v_lshlrev_b64_e32 v[0:1], 3, v[1:2]
	v_mov_b32_e32 v6, 0
	ds_load_b32 v68, v58
	ds_load_b32 v69, v57 offset:5100
	ds_load_2addr_b32 v[57:58], v8 offset0:125 offset1:210
	v_lshlrev_b64_e32 v[2:3], 3, v[3:4]
	s_delay_alu instid0(VALU_DEP_1) | instskip(SKIP_1) | instid1(VALU_DEP_2)
	v_add_co_u32 v4, vcc_lo, s6, v2
	s_wait_alu 0xfffd
	v_add_co_ci_u32_e32 v8, vcc_lo, s7, v3, vcc_lo
	v_lshlrev_b64_e32 v[2:3], 3, v[5:6]
	s_delay_alu instid0(VALU_DEP_3) | instskip(SKIP_1) | instid1(VALU_DEP_3)
	v_add_co_u32 v4, vcc_lo, v4, v0
	s_wait_alu 0xfffd
	v_add_co_ci_u32_e32 v5, vcc_lo, v8, v1, vcc_lo
	s_delay_alu instid0(VALU_DEP_2) | instskip(SKIP_1) | instid1(VALU_DEP_2)
	v_add_co_u32 v2, vcc_lo, v4, v2
	s_wait_alu 0xfffd
	v_add_co_ci_u32_e32 v3, vcc_lo, v5, v3, vcc_lo
	s_wait_loadcnt_dscnt 0x703
	v_mul_f32_e32 v4, v56, v30
	s_wait_loadcnt_dscnt 0x600
	v_mul_f32_e32 v5, v58, v34
	s_wait_loadcnt 0x5
	v_mul_f32_e32 v6, v14, v38
	s_wait_loadcnt 0x4
	v_mul_f32_e32 v8, v18, v42
	ds_load_2addr_b32 v[59:60], v25 offset0:169 offset1:254
	ds_load_2addr_b32 v[61:62], v61 offset0:81 offset1:166
	;; [unrolled: 1-line block ×4, first 2 shown]
	v_mul_f32_e32 v30, v10, v30
	v_fma_f32 v4, v10, v29, -v4
	v_fma_f32 v5, v20, v33, -v5
	v_mul_f32_e32 v78, v17, v40
	s_wait_loadcnt 0x1
	v_dual_mul_f32 v70, v12, v54 :: v_dual_mul_f32 v77, v13, v36
	v_dual_mul_f32 v34, v20, v34 :: v_dual_mul_f32 v73, v11, v52
	v_dual_sub_f32 v5, v4, v5 :: v_dual_mul_f32 v76, v57, v32
	s_delay_alu instid0(VALU_DEP_2) | instskip(NEXT) | instid1(VALU_DEP_2)
	v_dual_mul_f32 v75, v55, v28 :: v_dual_fmac_f32 v34, v33, v58
	v_fma_f32 v4, v4, 2.0, -v5
	s_wait_dscnt 0x3
	v_mul_f32_e32 v25, v60, v38
	s_wait_dscnt 0x2
	v_mul_f32_e32 v38, v62, v42
	ds_load_2addr_b32 v[0:1], v67 offset0:83 offset1:168
	s_wait_dscnt 0x1
	v_dual_mul_f32 v67, v66, v50 :: v_dual_mul_f32 v72, v65, v48
	v_fma_f32 v10, v14, v37, -v25
	v_fma_f32 v14, v18, v41, -v38
	v_mul_f32_e32 v71, v63, v44
	v_mul_f32_e32 v44, v15, v44
	;; [unrolled: 1-line block ×3, first 2 shown]
	v_fmac_f32_e32 v8, v62, v41
	v_sub_f32_e32 v14, v10, v14
	v_fma_f32 v18, v22, v49, -v67
	s_wait_loadcnt 0x0
	v_dual_mul_f32 v74, v26, v24 :: v_dual_fmac_f32 v77, v59, v35
	v_fmac_f32_e32 v78, v61, v39
	v_fma_f32 v10, v10, 2.0, -v14
	v_mul_f32_e32 v36, v59, v36
	s_delay_alu instid0(VALU_DEP_2)
	v_sub_f32_e32 v10, v4, v10
	s_wait_dscnt 0x0
	v_mul_f32_e32 v54, v1, v54
	v_fmac_f32_e32 v70, v1, v53
	v_fma_f32 v1, v15, v43, -v71
	v_fma_f32 v15, v21, v47, -v72
	v_mul_f32_e32 v52, v0, v52
	v_dual_mul_f32 v24, v69, v24 :: v_dual_fmac_f32 v73, v0, v51
	v_fma_f32 v0, v9, v27, -v75
	s_delay_alu instid0(VALU_DEP_4) | instskip(NEXT) | instid1(VALU_DEP_4)
	v_sub_f32_e32 v15, v1, v15
	v_fma_f32 v11, v11, v51, -v52
	v_dual_mul_f32 v48, v21, v48 :: v_dual_sub_f32 v21, v68, v70
	v_fmac_f32_e32 v74, v69, v23
	s_delay_alu instid0(VALU_DEP_4) | instskip(SKIP_1) | instid1(VALU_DEP_1)
	v_fma_f32 v1, v1, 2.0, -v15
	v_fmac_f32_e32 v6, v60, v37
	v_sub_f32_e32 v8, v6, v8
	v_mul_f32_e32 v46, v16, v46
	v_fma_f32 v16, v16, v45, -v42
	s_delay_alu instid0(VALU_DEP_1) | instskip(SKIP_2) | instid1(VALU_DEP_3)
	v_sub_f32_e32 v18, v16, v18
	v_mul_f32_e32 v28, v9, v28
	v_fma_f32 v9, v19, v31, -v76
	v_fma_f32 v16, v16, 2.0, -v18
	s_delay_alu instid0(VALU_DEP_2) | instskip(NEXT) | instid1(VALU_DEP_1)
	v_sub_f32_e32 v9, v0, v9
	v_fma_f32 v0, v0, 2.0, -v9
	v_fmac_f32_e32 v30, v29, v56
	s_delay_alu instid0(VALU_DEP_1) | instskip(NEXT) | instid1(VALU_DEP_1)
	v_sub_f32_e32 v20, v30, v34
	v_dual_mul_f32 v40, v61, v40 :: v_dual_add_f32 v29, v20, v14
	s_delay_alu instid0(VALU_DEP_1)
	v_fma_f32 v17, v17, v39, -v40
	v_mul_f32_e32 v32, v19, v32
	v_fma_f32 v19, v26, v23, -v24
	v_sub_f32_e32 v23, v77, v78
	v_fma_f32 v13, v13, v35, -v36
	v_mul_f32_e32 v50, v22, v50
	s_delay_alu instid0(VALU_DEP_4) | instskip(SKIP_1) | instid1(VALU_DEP_4)
	v_dual_sub_f32 v22, v73, v74 :: v_dual_sub_f32 v19, v11, v19
	v_fmac_f32_e32 v48, v47, v65
	v_sub_f32_e32 v17, v13, v17
	v_fmac_f32_e32 v32, v31, v57
	v_dual_add_f32 v31, v18, v21 :: v_dual_fmac_f32 v28, v27, v55
	v_sub_f32_e32 v33, v9, v23
	v_fma_f32 v11, v11, 2.0, -v19
	v_fma_f32 v23, v77, 2.0, -v23
	s_delay_alu instid0(VALU_DEP_4) | instskip(SKIP_4) | instid1(VALU_DEP_4)
	v_dual_fmac_f32 v50, v49, v66 :: v_dual_sub_f32 v25, v28, v32
	v_fmac_f32_e32 v44, v43, v63
	v_fma_f32 v12, v12, v53, -v54
	v_sub_f32_e32 v27, v5, v8
	v_sub_f32_e32 v11, v1, v11
	v_dual_add_f32 v35, v25, v17 :: v_dual_sub_f32 v24, v44, v48
	s_delay_alu instid0(VALU_DEP_4)
	v_sub_f32_e32 v12, v7, v12
	v_sub_f32_e32 v32, v15, v22
	v_fma_f32 v13, v13, 2.0, -v17
	v_fma_f32 v14, v68, 2.0, -v21
	v_add_f32_e32 v34, v24, v19
	v_fma_f32 v19, v28, 2.0, -v25
	v_fma_f32 v17, v44, 2.0, -v24
	v_fma_f32 v7, v7, 2.0, -v12
	v_dual_fmamk_f32 v28, v29, 0x3f3504f3, v31 :: v_dual_sub_f32 v13, v0, v13
	s_delay_alu instid0(VALU_DEP_4)
	v_dual_sub_f32 v23, v19, v23 :: v_dual_fmac_f32 v46, v45, v64
	v_fma_f32 v18, v30, 2.0, -v20
	v_fmamk_f32 v30, v34, 0x3f3504f3, v35
	v_fma_f32 v21, v21, 2.0, -v31
	v_fma_f32 v20, v20, 2.0, -v29
	v_sub_f32_e32 v26, v46, v50
	v_fma_f32 v39, v9, 2.0, -v33
	v_fma_f32 v9, v15, 2.0, -v32
	;; [unrolled: 1-line block ×4, first 2 shown]
	v_sub_f32_e32 v36, v12, v26
	v_sub_f32_e32 v16, v7, v16
	v_fma_f32 v38, v5, 2.0, -v27
	v_fmac_f32_e32 v28, 0x3f3504f3, v27
	v_fmac_f32_e32 v30, 0x3f3504f3, v32
	v_fmamk_f32 v37, v27, 0x3f3504f3, v36
	v_fma_f32 v6, v6, 2.0, -v8
	v_fmamk_f32 v8, v32, 0x3f3504f3, v33
	v_dual_fmamk_f32 v40, v9, 0xbf3504f3, v39 :: v_dual_fmamk_f32 v41, v15, 0xbf3504f3, v24
	s_delay_alu instid0(VALU_DEP_3) | instskip(NEXT) | instid1(VALU_DEP_3)
	v_dual_fmac_f32 v37, 0xbf3504f3, v29 :: v_dual_sub_f32 v6, v18, v6
	v_fmac_f32_e32 v8, 0xbf3504f3, v34
	v_dual_fmamk_f32 v34, v20, 0xbf3504f3, v21 :: v_dual_add_f32 v29, v11, v23
	v_fma_f32 v11, v1, 2.0, -v11
	s_delay_alu instid0(VALU_DEP_4)
	v_sub_f32_e32 v32, v16, v6
	v_fma_f32 v6, v18, 2.0, -v6
	v_fma_f32 v18, v0, 2.0, -v13
	v_fmamk_f32 v0, v8, 0x3f6c835e, v37
	v_fmac_f32_e32 v34, 0x3f3504f3, v38
	v_fmac_f32_e32 v40, 0xbf3504f3, v15
	;; [unrolled: 1-line block ×3, first 2 shown]
	v_fma_f32 v31, v31, 2.0, -v28
	v_fma_f32 v35, v35, 2.0, -v30
	;; [unrolled: 1-line block ×3, first 2 shown]
	v_fmamk_f32 v1, v30, 0x3f6c835e, v28
	v_sub_f32_e32 v15, v18, v11
	v_fma_f32 v33, v33, 2.0, -v8
	v_dual_fmac_f32 v0, 0xbec3ef15, v30 :: v_dual_fmamk_f32 v11, v35, 0xbec3ef15, v31
	v_fma_f32 v45, v21, 2.0, -v34
	v_fma_f32 v30, v39, 2.0, -v40
	;; [unrolled: 1-line block ×3, first 2 shown]
	s_delay_alu instid0(VALU_DEP_4) | instskip(SKIP_2) | instid1(VALU_DEP_4)
	v_dual_sub_f32 v26, v14, v26 :: v_dual_fmac_f32 v11, 0x3f6c835e, v33
	v_fma_f32 v19, v19, 2.0, -v23
	v_fma_f32 v23, v23, 2.0, -v29
	v_fmamk_f32 v21, v39, 0xbf6c835e, v45
	v_fma_f32 v25, v12, 2.0, -v36
	v_fma_f32 v14, v14, 2.0, -v26
	v_add_f32_e32 v27, v10, v26
	v_fma_f32 v36, v36, 2.0, -v37
	v_fmac_f32_e32 v21, 0x3ec3ef15, v30
	v_fmamk_f32 v42, v38, 0xbf3504f3, v25
	v_fma_f32 v43, v7, 2.0, -v16
	v_fma_f32 v7, v4, 2.0, -v10
	v_fmamk_f32 v5, v29, 0x3f3504f3, v27
	v_fma_f32 v38, v26, 2.0, -v27
	v_fmac_f32_e32 v42, 0xbf3504f3, v20
	v_sub_f32_e32 v20, v14, v6
	v_fma_f32 v44, v16, 2.0, -v32
	v_fmac_f32_e32 v1, 0x3ec3ef15, v8
	s_delay_alu instid0(VALU_DEP_4) | instskip(NEXT) | instid1(VALU_DEP_4)
	v_fma_f32 v46, v25, 2.0, -v42
	v_add_f32_e32 v9, v20, v15
	v_fma_f32 v22, v73, 2.0, -v22
	v_fmamk_f32 v6, v40, 0x3ec3ef15, v42
	v_fma_f32 v47, v14, 2.0, -v20
	v_fma_f32 v25, v18, 2.0, -v15
	;; [unrolled: 1-line block ×3, first 2 shown]
	v_sub_f32_e32 v22, v17, v22
	v_fmac_f32_e32 v6, 0xbf6c835e, v41
	v_fma_f32 v14, v37, 2.0, -v0
	s_delay_alu instid0(VALU_DEP_3) | instskip(SKIP_2) | instid1(VALU_DEP_3)
	v_sub_f32_e32 v12, v13, v22
	v_fma_f32 v10, v17, 2.0, -v22
	v_dual_sub_f32 v22, v43, v7 :: v_dual_fmamk_f32 v7, v41, 0x3ec3ef15, v34
	v_fma_f32 v26, v13, 2.0, -v12
	s_delay_alu instid0(VALU_DEP_3) | instskip(SKIP_2) | instid1(VALU_DEP_3)
	v_dual_sub_f32 v17, v19, v10 :: v_dual_fmamk_f32 v4, v12, 0x3f3504f3, v32
	v_fmac_f32_e32 v5, 0x3f3504f3, v12
	v_fmamk_f32 v10, v33, 0xbec3ef15, v36
	v_dual_fmamk_f32 v13, v23, 0xbf3504f3, v38 :: v_dual_sub_f32 v8, v22, v17
	v_fmamk_f32 v12, v26, 0xbf3504f3, v44
	v_fma_f32 v24, v19, 2.0, -v17
	v_fma_f32 v43, v43, 2.0, -v22
	;; [unrolled: 1-line block ×3, first 2 shown]
	v_fmamk_f32 v20, v30, 0xbf6c835e, v46
	v_fmac_f32_e32 v7, 0x3f6c835e, v40
	v_fmac_f32_e32 v4, 0xbf3504f3, v29
	v_fma_f32 v18, v22, 2.0, -v8
	v_fmac_f32_e32 v10, 0xbf6c835e, v35
	v_fmac_f32_e32 v13, 0x3f3504f3, v26
	v_dual_fmac_f32 v12, 0xbf3504f3, v23 :: v_dual_sub_f32 v23, v47, v24
	v_sub_f32_e32 v22, v43, v25
	v_fmac_f32_e32 v20, 0xbec3ef15, v39
	v_fma_f32 v25, v34, 2.0, -v7
	v_fma_f32 v24, v42, 2.0, -v6
	;; [unrolled: 1-line block ×12, first 2 shown]
	s_clause 0xf
	global_store_b64 v[2:3], v[18:19], off offset:2720
	global_store_b64 v[2:3], v[24:25], off offset:3400
	;; [unrolled: 1-line block ×8, first 2 shown]
	global_store_b64 v[2:3], v[30:31], off
	global_store_b64 v[2:3], v[32:33], off offset:680
	global_store_b64 v[2:3], v[28:29], off offset:1360
	;; [unrolled: 1-line block ×7, first 2 shown]
.LBB0_26:
	s_nop 0
	s_sendmsg sendmsg(MSG_DEALLOC_VGPRS)
	s_endpgm
	.section	.rodata,"a",@progbits
	.p2align	6, 0x0
	.amdhsa_kernel fft_rtc_fwd_len1360_factors_17_5_16_wgs_255_tpt_85_halfLds_sp_op_CI_CI_unitstride_sbrr_dirReg
		.amdhsa_group_segment_fixed_size 0
		.amdhsa_private_segment_fixed_size 0
		.amdhsa_kernarg_size 104
		.amdhsa_user_sgpr_count 2
		.amdhsa_user_sgpr_dispatch_ptr 0
		.amdhsa_user_sgpr_queue_ptr 0
		.amdhsa_user_sgpr_kernarg_segment_ptr 1
		.amdhsa_user_sgpr_dispatch_id 0
		.amdhsa_user_sgpr_private_segment_size 0
		.amdhsa_wavefront_size32 1
		.amdhsa_uses_dynamic_stack 0
		.amdhsa_enable_private_segment 0
		.amdhsa_system_sgpr_workgroup_id_x 1
		.amdhsa_system_sgpr_workgroup_id_y 0
		.amdhsa_system_sgpr_workgroup_id_z 0
		.amdhsa_system_sgpr_workgroup_info 0
		.amdhsa_system_vgpr_workitem_id 0
		.amdhsa_next_free_vgpr 100
		.amdhsa_next_free_sgpr 39
		.amdhsa_reserve_vcc 1
		.amdhsa_float_round_mode_32 0
		.amdhsa_float_round_mode_16_64 0
		.amdhsa_float_denorm_mode_32 3
		.amdhsa_float_denorm_mode_16_64 3
		.amdhsa_fp16_overflow 0
		.amdhsa_workgroup_processor_mode 1
		.amdhsa_memory_ordered 1
		.amdhsa_forward_progress 0
		.amdhsa_round_robin_scheduling 0
		.amdhsa_exception_fp_ieee_invalid_op 0
		.amdhsa_exception_fp_denorm_src 0
		.amdhsa_exception_fp_ieee_div_zero 0
		.amdhsa_exception_fp_ieee_overflow 0
		.amdhsa_exception_fp_ieee_underflow 0
		.amdhsa_exception_fp_ieee_inexact 0
		.amdhsa_exception_int_div_zero 0
	.end_amdhsa_kernel
	.text
.Lfunc_end0:
	.size	fft_rtc_fwd_len1360_factors_17_5_16_wgs_255_tpt_85_halfLds_sp_op_CI_CI_unitstride_sbrr_dirReg, .Lfunc_end0-fft_rtc_fwd_len1360_factors_17_5_16_wgs_255_tpt_85_halfLds_sp_op_CI_CI_unitstride_sbrr_dirReg
                                        ; -- End function
	.section	.AMDGPU.csdata,"",@progbits
; Kernel info:
; codeLenInByte = 12624
; NumSgprs: 41
; NumVgprs: 100
; ScratchSize: 0
; MemoryBound: 0
; FloatMode: 240
; IeeeMode: 1
; LDSByteSize: 0 bytes/workgroup (compile time only)
; SGPRBlocks: 5
; VGPRBlocks: 12
; NumSGPRsForWavesPerEU: 41
; NumVGPRsForWavesPerEU: 100
; Occupancy: 12
; WaveLimiterHint : 1
; COMPUTE_PGM_RSRC2:SCRATCH_EN: 0
; COMPUTE_PGM_RSRC2:USER_SGPR: 2
; COMPUTE_PGM_RSRC2:TRAP_HANDLER: 0
; COMPUTE_PGM_RSRC2:TGID_X_EN: 1
; COMPUTE_PGM_RSRC2:TGID_Y_EN: 0
; COMPUTE_PGM_RSRC2:TGID_Z_EN: 0
; COMPUTE_PGM_RSRC2:TIDIG_COMP_CNT: 0
	.text
	.p2alignl 7, 3214868480
	.fill 96, 4, 3214868480
	.type	__hip_cuid_e5dcd5e1ec71e0d7,@object ; @__hip_cuid_e5dcd5e1ec71e0d7
	.section	.bss,"aw",@nobits
	.globl	__hip_cuid_e5dcd5e1ec71e0d7
__hip_cuid_e5dcd5e1ec71e0d7:
	.byte	0                               ; 0x0
	.size	__hip_cuid_e5dcd5e1ec71e0d7, 1

	.ident	"AMD clang version 19.0.0git (https://github.com/RadeonOpenCompute/llvm-project roc-6.4.0 25133 c7fe45cf4b819c5991fe208aaa96edf142730f1d)"
	.section	".note.GNU-stack","",@progbits
	.addrsig
	.addrsig_sym __hip_cuid_e5dcd5e1ec71e0d7
	.amdgpu_metadata
---
amdhsa.kernels:
  - .args:
      - .actual_access:  read_only
        .address_space:  global
        .offset:         0
        .size:           8
        .value_kind:     global_buffer
      - .offset:         8
        .size:           8
        .value_kind:     by_value
      - .actual_access:  read_only
        .address_space:  global
        .offset:         16
        .size:           8
        .value_kind:     global_buffer
      - .actual_access:  read_only
        .address_space:  global
        .offset:         24
        .size:           8
        .value_kind:     global_buffer
      - .actual_access:  read_only
        .address_space:  global
        .offset:         32
        .size:           8
        .value_kind:     global_buffer
      - .offset:         40
        .size:           8
        .value_kind:     by_value
      - .actual_access:  read_only
        .address_space:  global
        .offset:         48
        .size:           8
        .value_kind:     global_buffer
      - .actual_access:  read_only
        .address_space:  global
        .offset:         56
        .size:           8
        .value_kind:     global_buffer
      - .offset:         64
        .size:           4
        .value_kind:     by_value
      - .actual_access:  read_only
        .address_space:  global
        .offset:         72
        .size:           8
        .value_kind:     global_buffer
      - .actual_access:  read_only
        .address_space:  global
        .offset:         80
        .size:           8
        .value_kind:     global_buffer
      - .actual_access:  read_only
        .address_space:  global
        .offset:         88
        .size:           8
        .value_kind:     global_buffer
      - .actual_access:  write_only
        .address_space:  global
        .offset:         96
        .size:           8
        .value_kind:     global_buffer
    .group_segment_fixed_size: 0
    .kernarg_segment_align: 8
    .kernarg_segment_size: 104
    .language:       OpenCL C
    .language_version:
      - 2
      - 0
    .max_flat_workgroup_size: 255
    .name:           fft_rtc_fwd_len1360_factors_17_5_16_wgs_255_tpt_85_halfLds_sp_op_CI_CI_unitstride_sbrr_dirReg
    .private_segment_fixed_size: 0
    .sgpr_count:     41
    .sgpr_spill_count: 0
    .symbol:         fft_rtc_fwd_len1360_factors_17_5_16_wgs_255_tpt_85_halfLds_sp_op_CI_CI_unitstride_sbrr_dirReg.kd
    .uniform_work_group_size: 1
    .uses_dynamic_stack: false
    .vgpr_count:     100
    .vgpr_spill_count: 0
    .wavefront_size: 32
    .workgroup_processor_mode: 1
amdhsa.target:   amdgcn-amd-amdhsa--gfx1201
amdhsa.version:
  - 1
  - 2
...

	.end_amdgpu_metadata
